;; amdgpu-corpus repo=ggml-org/llama.cpp kind=compiled arch=gfx906 opt=O3
	.amdgcn_target "amdgcn-amd-amdhsa--gfx906"
	.amdhsa_code_object_version 6
	.section	.text._ZL15concat_f32_contILi0EEvPKfS1_Pfllllll,"axG",@progbits,_ZL15concat_f32_contILi0EEvPKfS1_Pfllllll,comdat
	.globl	_ZL15concat_f32_contILi0EEvPKfS1_Pfllllll ; -- Begin function _ZL15concat_f32_contILi0EEvPKfS1_Pfllllll
	.p2align	8
	.type	_ZL15concat_f32_contILi0EEvPKfS1_Pfllllll,@function
_ZL15concat_f32_contILi0EEvPKfS1_Pfllllll: ; @_ZL15concat_f32_contILi0EEvPKfS1_Pfllllll
; %bb.0:
	s_load_dwordx4 s[16:19], s[4:5], 0x30
	s_load_dwordx2 s[0:1], s[4:5], 0x40
	s_load_dword s7, s[4:5], 0x54
	v_mov_b32_e32 v3, 0
	s_waitcnt lgkmcnt(0)
	s_mul_i32 s2, s18, s17
	s_mul_hi_u32 s3, s18, s16
	s_add_i32 s2, s3, s2
	s_mul_i32 s3, s19, s16
	s_mul_i32 s8, s18, s16
	s_add_i32 s2, s2, s3
	s_mul_i32 s1, s8, s1
	s_mul_hi_u32 s3, s8, s0
	s_add_i32 s1, s3, s1
	s_mul_i32 s2, s2, s0
	s_add_i32 s3, s1, s2
	s_add_u32 s18, s4, 0x48
	s_addc_u32 s19, s5, 0
	s_and_b32 s7, s7, 0xffff
	s_mul_i32 s2, s8, s0
	s_mul_hi_u32 s1, s7, s6
	s_mul_i32 s0, s7, s6
	v_mov_b32_e32 v2, s1
	v_add_co_u32_e32 v1, vcc, s0, v0
	v_addc_co_u32_e32 v2, vcc, 0, v2, vcc
	v_cmp_gt_i64_e32 vcc, s[2:3], v[1:2]
	s_and_saveexec_b64 s[8:9], vcc
	s_cbranch_execz .LBB0_11
; %bb.1:
	s_load_dword s6, s[18:19], 0x0
	s_load_dwordx8 s[8:15], s[4:5], 0x0
	v_lshlrev_b32_e32 v4, 2, v0
	s_mov_b64 s[18:19], 0
	s_waitcnt lgkmcnt(0)
	s_mul_hi_u32 s5, s7, s6
	s_mul_i32 s4, s7, s6
	v_mov_b32_e32 v5, s13
	v_add_co_u32_e32 v0, vcc, s12, v4
	v_addc_co_u32_e32 v8, vcc, 0, v5, vcc
	s_lshl_b64 s[6:7], s[0:1], 2
	s_lshl_b64 s[12:13], s[4:5], 2
	;; [unrolled: 1-line block ×3, first 2 shown]
	s_sub_u32 s24, 0, s0
	v_mov_b32_e32 v5, s1
	v_subrev_co_u32_e32 v4, vcc, s0, v4
	s_subb_u32 s25, 0, s1
	v_subb_co_u32_e32 v5, vcc, 0, v5, vcc
	v_mov_b32_e32 v6, s11
	v_add_co_u32_e32 v9, vcc, s10, v4
	s_sub_u32 s26, 0, s16
	v_addc_co_u32_e32 v10, vcc, v6, v5, vcc
	s_subb_u32 s27, 0, s17
	s_branch .LBB0_3
.LBB0_2:                                ;   in Loop: Header=BB0_3 Depth=1
	s_or_b64 exec, exec, s[0:1]
	global_load_dword v6, v[6:7], off
	v_mov_b32_e32 v5, s7
	v_add_co_u32_e32 v4, vcc, s6, v0
	v_addc_co_u32_e32 v5, vcc, v8, v5, vcc
	v_mov_b32_e32 v7, s5
	v_add_co_u32_e32 v1, vcc, s4, v1
	v_addc_co_u32_e32 v2, vcc, v2, v7, vcc
	s_add_u32 s6, s6, s12
	v_cmp_le_i64_e32 vcc, s[2:3], v[1:2]
	s_addc_u32 s7, s7, s13
	s_or_b64 s[18:19], vcc, s[18:19]
	s_waitcnt vmcnt(0)
	global_store_dword v[4:5], v6, off
	s_andn2_b64 exec, exec, s[18:19]
	s_cbranch_execz .LBB0_11
.LBB0_3:                                ; =>This Inner Loop Header: Depth=1
	v_or_b32_e32 v4, s17, v2
	v_cmp_ne_u64_e32 vcc, 0, v[3:4]
                                        ; implicit-def: $vgpr4_vgpr5
	s_and_saveexec_b64 s[0:1], vcc
	s_xor_b64 s[10:11], exec, s[0:1]
	s_cbranch_execz .LBB0_5
; %bb.4:                                ;   in Loop: Header=BB0_3 Depth=1
	s_ashr_i32 s20, s17, 31
	s_add_u32 s0, s16, s20
	s_mov_b32 s21, s20
	s_addc_u32 s1, s17, s20
	s_xor_b64 s[22:23], s[0:1], s[20:21]
	v_cvt_f32_u32_e32 v4, s22
	v_cvt_f32_u32_e32 v5, s23
	s_sub_u32 s21, 0, s22
	s_subb_u32 s28, 0, s23
	v_ashrrev_i32_e32 v11, 31, v2
	v_mac_f32_e32 v4, 0x4f800000, v5
	v_rcp_f32_e32 v4, v4
	v_mul_f32_e32 v4, 0x5f7ffffc, v4
	v_mul_f32_e32 v5, 0x2f800000, v4
	v_trunc_f32_e32 v5, v5
	v_mac_f32_e32 v4, 0xcf800000, v5
	v_cvt_u32_f32_e32 v5, v5
	v_cvt_u32_f32_e32 v4, v4
	v_readfirstlane_b32 s29, v5
	v_readfirstlane_b32 s0, v4
	s_mul_i32 s1, s21, s29
	s_mul_hi_u32 s31, s21, s0
	s_mul_i32 s30, s28, s0
	s_add_i32 s1, s31, s1
	s_add_i32 s1, s1, s30
	s_mul_i32 s33, s21, s0
	s_mul_i32 s31, s0, s1
	s_mul_hi_u32 s34, s0, s33
	s_mul_hi_u32 s30, s0, s1
	s_add_u32 s31, s34, s31
	s_addc_u32 s30, 0, s30
	s_mul_hi_u32 s35, s29, s33
	s_mul_i32 s33, s29, s33
	s_add_u32 s31, s31, s33
	s_mul_hi_u32 s34, s29, s1
	s_addc_u32 s30, s30, s35
	s_addc_u32 s31, s34, 0
	s_mul_i32 s1, s29, s1
	s_add_u32 s1, s30, s1
	s_addc_u32 s30, 0, s31
	s_add_u32 s31, s0, s1
	s_cselect_b64 s[0:1], -1, 0
	s_cmp_lg_u64 s[0:1], 0
	s_addc_u32 s29, s29, s30
	s_mul_i32 s0, s21, s29
	s_mul_hi_u32 s1, s21, s31
	s_add_i32 s0, s1, s0
	s_mul_i32 s28, s28, s31
	s_add_i32 s0, s0, s28
	s_mul_i32 s21, s21, s31
	s_mul_hi_u32 s28, s29, s21
	s_mul_i32 s30, s29, s21
	s_mul_i32 s34, s31, s0
	s_mul_hi_u32 s21, s31, s21
	s_mul_hi_u32 s33, s31, s0
	s_add_u32 s21, s21, s34
	s_addc_u32 s33, 0, s33
	s_add_u32 s21, s21, s30
	s_mul_hi_u32 s1, s29, s0
	s_addc_u32 s21, s33, s28
	s_addc_u32 s1, s1, 0
	s_mul_i32 s0, s29, s0
	s_add_u32 s0, s21, s0
	s_addc_u32 s21, 0, s1
	s_add_u32 s28, s31, s0
	s_cselect_b64 s[0:1], -1, 0
	s_cmp_lg_u64 s[0:1], 0
	v_add_co_u32_e32 v4, vcc, v1, v11
	s_addc_u32 s21, s29, s21
	v_xor_b32_e32 v12, v4, v11
	v_mad_u64_u32 v[4:5], s[0:1], v12, s21, 0
	v_mul_hi_u32 v7, v12, s28
	v_addc_co_u32_e32 v6, vcc, v2, v11, vcc
	v_xor_b32_e32 v13, v6, v11
	v_add_co_u32_e32 v14, vcc, v7, v4
	v_addc_co_u32_e32 v15, vcc, 0, v5, vcc
	v_mad_u64_u32 v[4:5], s[0:1], v13, s28, 0
	v_mad_u64_u32 v[6:7], s[0:1], v13, s21, 0
	v_add_co_u32_e32 v4, vcc, v14, v4
	v_addc_co_u32_e32 v4, vcc, v15, v5, vcc
	v_addc_co_u32_e32 v5, vcc, 0, v7, vcc
	v_add_co_u32_e32 v6, vcc, v4, v6
	v_addc_co_u32_e32 v7, vcc, 0, v5, vcc
	v_mul_lo_u32 v14, s23, v6
	v_mul_lo_u32 v15, s22, v7
	v_mad_u64_u32 v[4:5], s[0:1], s22, v6, 0
	v_add3_u32 v5, v5, v15, v14
	v_sub_u32_e32 v14, v13, v5
	v_mov_b32_e32 v15, s23
	v_sub_co_u32_e32 v4, vcc, v12, v4
	v_subb_co_u32_e64 v12, s[0:1], v14, v15, vcc
	v_subrev_co_u32_e64 v14, s[0:1], s22, v4
	v_subbrev_co_u32_e64 v12, s[0:1], 0, v12, s[0:1]
	v_cmp_le_u32_e64 s[0:1], s23, v12
	v_cndmask_b32_e64 v15, 0, -1, s[0:1]
	v_cmp_le_u32_e64 s[0:1], s22, v14
	v_cndmask_b32_e64 v14, 0, -1, s[0:1]
	v_cmp_eq_u32_e64 s[0:1], s23, v12
	v_cndmask_b32_e64 v12, v15, v14, s[0:1]
	v_add_co_u32_e64 v14, s[0:1], 2, v6
	v_subb_co_u32_e32 v5, vcc, v13, v5, vcc
	v_addc_co_u32_e64 v15, s[0:1], 0, v7, s[0:1]
	v_cmp_le_u32_e32 vcc, s23, v5
	v_add_co_u32_e64 v16, s[0:1], 1, v6
	v_cndmask_b32_e64 v13, 0, -1, vcc
	v_cmp_le_u32_e32 vcc, s22, v4
	v_addc_co_u32_e64 v17, s[0:1], 0, v7, s[0:1]
	v_cndmask_b32_e64 v4, 0, -1, vcc
	v_cmp_eq_u32_e32 vcc, s23, v5
	v_cmp_ne_u32_e64 s[0:1], 0, v12
	v_cndmask_b32_e32 v4, v13, v4, vcc
	v_cndmask_b32_e64 v12, v17, v15, s[0:1]
	v_cmp_ne_u32_e32 vcc, 0, v4
	v_cndmask_b32_e64 v5, v16, v14, s[0:1]
	v_cndmask_b32_e32 v4, v7, v12, vcc
	v_cndmask_b32_e32 v5, v6, v5, vcc
	v_xor_b32_e32 v6, s20, v11
	v_xor_b32_e32 v7, v4, v6
	;; [unrolled: 1-line block ×3, first 2 shown]
	v_sub_co_u32_e32 v4, vcc, v4, v6
	v_subb_co_u32_e32 v5, vcc, v7, v6, vcc
.LBB0_5:                                ;   in Loop: Header=BB0_3 Depth=1
	s_andn2_saveexec_b64 s[0:1], s[10:11]
	s_cbranch_execz .LBB0_7
; %bb.6:                                ;   in Loop: Header=BB0_3 Depth=1
	v_cvt_f32_u32_e32 v4, s16
	s_sub_i32 s10, 0, s16
	v_rcp_iflag_f32_e32 v4, v4
	v_mul_f32_e32 v4, 0x4f7ffffe, v4
	v_cvt_u32_f32_e32 v4, v4
	v_mul_lo_u32 v5, s10, v4
	v_mul_hi_u32 v5, v4, v5
	v_add_u32_e32 v4, v4, v5
	v_mul_hi_u32 v4, v1, v4
	v_mul_lo_u32 v5, v4, s16
	v_add_u32_e32 v6, 1, v4
	v_sub_u32_e32 v5, v1, v5
	v_subrev_u32_e32 v7, s16, v5
	v_cmp_le_u32_e32 vcc, s16, v5
	v_cndmask_b32_e32 v5, v5, v7, vcc
	v_cndmask_b32_e32 v4, v4, v6, vcc
	v_add_u32_e32 v6, 1, v4
	v_cmp_le_u32_e32 vcc, s16, v5
	v_cndmask_b32_e32 v4, v4, v6, vcc
	v_mov_b32_e32 v5, v3
.LBB0_7:                                ;   in Loop: Header=BB0_3 Depth=1
	s_or_b64 exec, exec, s[0:1]
	v_mad_u64_u32 v[6:7], s[0:1], s26, v4, v[1:2]
	v_mul_lo_u32 v11, s26, v5
	v_mul_lo_u32 v12, s27, v4
	v_add3_u32 v7, v12, v7, v11
	v_cmp_le_i64_e32 vcc, s[14:15], v[6:7]
                                        ; implicit-def: $vgpr6_vgpr7
	s_and_saveexec_b64 s[0:1], vcc
	s_xor_b64 s[0:1], exec, s[0:1]
	s_cbranch_execz .LBB0_9
; %bb.8:                                ;   in Loop: Header=BB0_3 Depth=1
	v_mov_b32_e32 v6, s6
	v_mov_b32_e32 v7, s7
	v_mul_lo_u32 v11, s24, v5
	v_mul_lo_u32 v12, s25, v4
	v_mad_u64_u32 v[4:5], s[10:11], s24, v4, v[6:7]
	v_add3_u32 v5, v12, v5, v11
	v_add_co_u32_e32 v6, vcc, v9, v4
	v_addc_co_u32_e32 v7, vcc, v10, v5, vcc
                                        ; implicit-def: $vgpr4_vgpr5
.LBB0_9:                                ;   in Loop: Header=BB0_3 Depth=1
	s_andn2_saveexec_b64 s[0:1], s[0:1]
	s_cbranch_execz .LBB0_2
; %bb.10:                               ;   in Loop: Header=BB0_3 Depth=1
	v_mul_lo_u32 v11, v5, s16
	v_mul_lo_u32 v12, v4, s17
	v_mad_u64_u32 v[6:7], s[10:11], v4, s16, 0
	v_add3_u32 v7, v7, v12, v11
	v_mul_lo_u32 v11, v5, s14
	v_mul_lo_u32 v12, v4, s15
	v_mad_u64_u32 v[4:5], s[10:11], v4, s14, 0
	v_sub_co_u32_e32 v6, vcc, v1, v6
	v_add3_u32 v5, v5, v12, v11
	v_lshlrev_b64 v[4:5], 2, v[4:5]
	v_subb_co_u32_e32 v7, vcc, v2, v7, vcc
	v_mov_b32_e32 v11, s9
	v_add_co_u32_e32 v12, vcc, s8, v4
	v_addc_co_u32_e32 v11, vcc, v11, v5, vcc
	v_lshlrev_b64 v[4:5], 2, v[6:7]
	v_add_co_u32_e32 v6, vcc, v12, v4
	v_addc_co_u32_e32 v7, vcc, v11, v5, vcc
	s_branch .LBB0_2
.LBB0_11:
	s_endpgm
	.section	.rodata,"a",@progbits
	.p2align	6, 0x0
	.amdhsa_kernel _ZL15concat_f32_contILi0EEvPKfS1_Pfllllll
		.amdhsa_group_segment_fixed_size 0
		.amdhsa_private_segment_fixed_size 0
		.amdhsa_kernarg_size 328
		.amdhsa_user_sgpr_count 6
		.amdhsa_user_sgpr_private_segment_buffer 1
		.amdhsa_user_sgpr_dispatch_ptr 0
		.amdhsa_user_sgpr_queue_ptr 0
		.amdhsa_user_sgpr_kernarg_segment_ptr 1
		.amdhsa_user_sgpr_dispatch_id 0
		.amdhsa_user_sgpr_flat_scratch_init 0
		.amdhsa_user_sgpr_private_segment_size 0
		.amdhsa_uses_dynamic_stack 0
		.amdhsa_system_sgpr_private_segment_wavefront_offset 0
		.amdhsa_system_sgpr_workgroup_id_x 1
		.amdhsa_system_sgpr_workgroup_id_y 0
		.amdhsa_system_sgpr_workgroup_id_z 0
		.amdhsa_system_sgpr_workgroup_info 0
		.amdhsa_system_vgpr_workitem_id 0
		.amdhsa_next_free_vgpr 18
		.amdhsa_next_free_sgpr 36
		.amdhsa_reserve_vcc 1
		.amdhsa_reserve_flat_scratch 0
		.amdhsa_float_round_mode_32 0
		.amdhsa_float_round_mode_16_64 0
		.amdhsa_float_denorm_mode_32 3
		.amdhsa_float_denorm_mode_16_64 3
		.amdhsa_dx10_clamp 1
		.amdhsa_ieee_mode 1
		.amdhsa_fp16_overflow 0
		.amdhsa_exception_fp_ieee_invalid_op 0
		.amdhsa_exception_fp_denorm_src 0
		.amdhsa_exception_fp_ieee_div_zero 0
		.amdhsa_exception_fp_ieee_overflow 0
		.amdhsa_exception_fp_ieee_underflow 0
		.amdhsa_exception_fp_ieee_inexact 0
		.amdhsa_exception_int_div_zero 0
	.end_amdhsa_kernel
	.section	.text._ZL15concat_f32_contILi0EEvPKfS1_Pfllllll,"axG",@progbits,_ZL15concat_f32_contILi0EEvPKfS1_Pfllllll,comdat
.Lfunc_end0:
	.size	_ZL15concat_f32_contILi0EEvPKfS1_Pfllllll, .Lfunc_end0-_ZL15concat_f32_contILi0EEvPKfS1_Pfllllll
                                        ; -- End function
	.set _ZL15concat_f32_contILi0EEvPKfS1_Pfllllll.num_vgpr, 18
	.set _ZL15concat_f32_contILi0EEvPKfS1_Pfllllll.num_agpr, 0
	.set _ZL15concat_f32_contILi0EEvPKfS1_Pfllllll.numbered_sgpr, 36
	.set _ZL15concat_f32_contILi0EEvPKfS1_Pfllllll.num_named_barrier, 0
	.set _ZL15concat_f32_contILi0EEvPKfS1_Pfllllll.private_seg_size, 0
	.set _ZL15concat_f32_contILi0EEvPKfS1_Pfllllll.uses_vcc, 1
	.set _ZL15concat_f32_contILi0EEvPKfS1_Pfllllll.uses_flat_scratch, 0
	.set _ZL15concat_f32_contILi0EEvPKfS1_Pfllllll.has_dyn_sized_stack, 0
	.set _ZL15concat_f32_contILi0EEvPKfS1_Pfllllll.has_recursion, 0
	.set _ZL15concat_f32_contILi0EEvPKfS1_Pfllllll.has_indirect_call, 0
	.section	.AMDGPU.csdata,"",@progbits
; Kernel info:
; codeLenInByte = 1264
; TotalNumSgprs: 40
; NumVgprs: 18
; ScratchSize: 0
; MemoryBound: 0
; FloatMode: 240
; IeeeMode: 1
; LDSByteSize: 0 bytes/workgroup (compile time only)
; SGPRBlocks: 4
; VGPRBlocks: 4
; NumSGPRsForWavesPerEU: 40
; NumVGPRsForWavesPerEU: 18
; Occupancy: 10
; WaveLimiterHint : 0
; COMPUTE_PGM_RSRC2:SCRATCH_EN: 0
; COMPUTE_PGM_RSRC2:USER_SGPR: 6
; COMPUTE_PGM_RSRC2:TRAP_HANDLER: 0
; COMPUTE_PGM_RSRC2:TGID_X_EN: 1
; COMPUTE_PGM_RSRC2:TGID_Y_EN: 0
; COMPUTE_PGM_RSRC2:TGID_Z_EN: 0
; COMPUTE_PGM_RSRC2:TIDIG_COMP_CNT: 0
	.section	.text._ZL15concat_f32_contILi1EEvPKfS1_Pfllllll,"axG",@progbits,_ZL15concat_f32_contILi1EEvPKfS1_Pfllllll,comdat
	.globl	_ZL15concat_f32_contILi1EEvPKfS1_Pfllllll ; -- Begin function _ZL15concat_f32_contILi1EEvPKfS1_Pfllllll
	.p2align	8
	.type	_ZL15concat_f32_contILi1EEvPKfS1_Pfllllll,@function
_ZL15concat_f32_contILi1EEvPKfS1_Pfllllll: ; @_ZL15concat_f32_contILi1EEvPKfS1_Pfllllll
; %bb.0:
	s_load_dwordx4 s[0:3], s[4:5], 0x30
	s_load_dwordx2 s[8:9], s[4:5], 0x40
	s_load_dword s7, s[4:5], 0x54
	v_mov_b32_e32 v2, 0
	v_mov_b32_e32 v1, v2
	s_waitcnt lgkmcnt(0)
	s_mul_i32 s10, s2, s1
	s_mul_hi_u32 s11, s2, s0
	s_add_i32 s24, s11, s10
	s_mul_i32 s3, s3, s0
	s_mul_i32 s25, s2, s0
	s_add_i32 s24, s24, s3
	s_mul_i32 s2, s25, s9
	s_mul_hi_u32 s3, s25, s8
	s_add_i32 s2, s3, s2
	s_mul_i32 s3, s24, s8
	s_add_i32 s3, s2, s3
	s_add_u32 s12, s4, 0x48
	s_addc_u32 s13, s5, 0
	s_and_b32 s14, s7, 0xffff
	v_mov_b32_e32 v3, s6
	v_mad_u64_u32 v[0:1], s[6:7], s14, v3, v[0:1]
	s_mul_i32 s2, s25, s8
	v_cmp_gt_i64_e32 vcc, s[2:3], v[0:1]
	s_and_saveexec_b64 s[6:7], vcc
	s_cbranch_execz .LBB1_11
; %bb.1:
	s_load_dwordx2 s[16:17], s[4:5], 0x20
	s_load_dwordx4 s[8:11], s[4:5], 0x0
	s_load_dwordx2 s[6:7], s[4:5], 0x10
	s_load_dword s15, s[12:13], 0x0
	v_lshlrev_b64 v[4:5], 2, v[0:1]
	s_waitcnt lgkmcnt(0)
	s_mul_i32 s4, s0, s17
	s_mul_hi_u32 s5, s0, s16
	s_add_i32 s4, s5, s4
	s_mul_i32 s1, s1, s16
	s_mul_hi_u32 s13, s14, s15
	s_mul_i32 s12, s14, s15
	s_add_i32 s5, s4, s1
	s_lshl_b64 s[14:15], s[12:13], 2
	s_sub_u32 s26, 0, s25
	s_mul_i32 s4, s0, s16
	s_mov_b64 s[16:17], 0
	s_subb_u32 s27, 0, s24
	s_ashr_i32 s18, s24, 31
	s_branch .LBB1_3
.LBB1_2:                                ;   in Loop: Header=BB1_3 Depth=1
	s_or_b64 exec, exec, s[0:1]
	global_load_dword v3, v[8:9], off
	v_mov_b32_e32 v6, s13
	v_add_co_u32_e32 v0, vcc, s12, v0
	v_addc_co_u32_e32 v1, vcc, v1, v6, vcc
	v_cmp_le_i64_e32 vcc, s[2:3], v[0:1]
	v_mov_b32_e32 v7, s7
	v_mov_b32_e32 v8, s15
	v_add_co_u32_e64 v6, s[0:1], s6, v4
	s_or_b64 s[16:17], vcc, s[16:17]
	v_add_co_u32_e32 v4, vcc, s14, v4
	v_addc_co_u32_e64 v7, s[0:1], v7, v5, s[0:1]
	v_addc_co_u32_e32 v5, vcc, v5, v8, vcc
	s_waitcnt vmcnt(0)
	global_store_dword v[6:7], v3, off
	s_andn2_b64 exec, exec, s[16:17]
	s_cbranch_execz .LBB1_11
.LBB1_3:                                ; =>This Inner Loop Header: Depth=1
	v_or_b32_e32 v3, s24, v1
	v_cmp_ne_u64_e32 vcc, 0, v[2:3]
                                        ; implicit-def: $vgpr6_vgpr7
	s_and_saveexec_b64 s[0:1], vcc
	s_xor_b64 s[20:21], exec, s[0:1]
	s_cbranch_execz .LBB1_5
; %bb.4:                                ;   in Loop: Header=BB1_3 Depth=1
	s_add_u32 s0, s25, s18
	s_mov_b32 s19, s18
	s_addc_u32 s1, s24, s18
	s_xor_b64 s[22:23], s[0:1], s[18:19]
	v_cvt_f32_u32_e32 v3, s22
	v_cvt_f32_u32_e32 v6, s23
	s_sub_u32 s19, 0, s22
	s_subb_u32 s28, 0, s23
	v_mac_f32_e32 v3, 0x4f800000, v6
	v_rcp_f32_e32 v3, v3
	v_mul_f32_e32 v3, 0x5f7ffffc, v3
	v_mul_f32_e32 v6, 0x2f800000, v3
	v_trunc_f32_e32 v6, v6
	v_mac_f32_e32 v3, 0xcf800000, v6
	v_cvt_u32_f32_e32 v6, v6
	v_cvt_u32_f32_e32 v3, v3
	v_readfirstlane_b32 s29, v6
	v_readfirstlane_b32 s0, v3
	s_mul_i32 s1, s19, s29
	s_mul_hi_u32 s31, s19, s0
	s_mul_i32 s30, s28, s0
	s_add_i32 s1, s31, s1
	s_add_i32 s1, s1, s30
	s_mul_i32 s33, s19, s0
	s_mul_i32 s31, s0, s1
	s_mul_hi_u32 s34, s0, s33
	s_mul_hi_u32 s30, s0, s1
	s_add_u32 s31, s34, s31
	s_addc_u32 s30, 0, s30
	s_mul_hi_u32 s35, s29, s33
	s_mul_i32 s33, s29, s33
	s_add_u32 s31, s31, s33
	s_mul_hi_u32 s34, s29, s1
	s_addc_u32 s30, s30, s35
	s_addc_u32 s31, s34, 0
	s_mul_i32 s1, s29, s1
	s_add_u32 s1, s30, s1
	s_addc_u32 s30, 0, s31
	s_add_u32 s31, s0, s1
	s_cselect_b64 s[0:1], -1, 0
	s_cmp_lg_u64 s[0:1], 0
	s_addc_u32 s29, s29, s30
	s_mul_i32 s0, s19, s29
	s_mul_hi_u32 s1, s19, s31
	s_add_i32 s0, s1, s0
	s_mul_i32 s28, s28, s31
	s_add_i32 s0, s0, s28
	s_mul_i32 s19, s19, s31
	s_mul_hi_u32 s28, s29, s19
	s_mul_i32 s30, s29, s19
	s_mul_i32 s34, s31, s0
	s_mul_hi_u32 s19, s31, s19
	s_mul_hi_u32 s33, s31, s0
	s_add_u32 s19, s19, s34
	s_addc_u32 s33, 0, s33
	s_add_u32 s19, s19, s30
	s_mul_hi_u32 s1, s29, s0
	s_addc_u32 s19, s33, s28
	s_addc_u32 s1, s1, 0
	s_mul_i32 s0, s29, s0
	s_add_u32 s0, s19, s0
	s_addc_u32 s19, 0, s1
	s_add_u32 s28, s31, s0
	s_cselect_b64 s[0:1], -1, 0
	v_ashrrev_i32_e32 v3, 31, v1
	s_cmp_lg_u64 s[0:1], 0
	v_add_co_u32_e32 v6, vcc, v0, v3
	s_addc_u32 s19, s29, s19
	v_xor_b32_e32 v10, v6, v3
	v_mad_u64_u32 v[6:7], s[0:1], v10, s19, 0
	v_mul_hi_u32 v9, v10, s28
	v_addc_co_u32_e32 v8, vcc, v1, v3, vcc
	v_xor_b32_e32 v11, v8, v3
	v_add_co_u32_e32 v12, vcc, v9, v6
	v_addc_co_u32_e32 v13, vcc, 0, v7, vcc
	v_mad_u64_u32 v[6:7], s[0:1], v11, s28, 0
	v_mad_u64_u32 v[8:9], s[0:1], v11, s19, 0
	v_add_co_u32_e32 v6, vcc, v12, v6
	v_addc_co_u32_e32 v6, vcc, v13, v7, vcc
	v_addc_co_u32_e32 v7, vcc, 0, v9, vcc
	v_add_co_u32_e32 v8, vcc, v6, v8
	v_addc_co_u32_e32 v9, vcc, 0, v7, vcc
	v_mul_lo_u32 v12, s23, v8
	v_mul_lo_u32 v13, s22, v9
	v_mad_u64_u32 v[6:7], s[0:1], s22, v8, 0
	v_xor_b32_e32 v3, s18, v3
	v_add3_u32 v7, v7, v13, v12
	v_sub_u32_e32 v12, v11, v7
	v_mov_b32_e32 v13, s23
	v_sub_co_u32_e32 v6, vcc, v10, v6
	v_subb_co_u32_e64 v10, s[0:1], v12, v13, vcc
	v_subrev_co_u32_e64 v12, s[0:1], s22, v6
	v_subbrev_co_u32_e64 v10, s[0:1], 0, v10, s[0:1]
	v_cmp_le_u32_e64 s[0:1], s23, v10
	v_cndmask_b32_e64 v13, 0, -1, s[0:1]
	v_cmp_le_u32_e64 s[0:1], s22, v12
	v_cndmask_b32_e64 v12, 0, -1, s[0:1]
	v_cmp_eq_u32_e64 s[0:1], s23, v10
	v_cndmask_b32_e64 v10, v13, v12, s[0:1]
	v_add_co_u32_e64 v12, s[0:1], 2, v8
	v_subb_co_u32_e32 v7, vcc, v11, v7, vcc
	v_addc_co_u32_e64 v13, s[0:1], 0, v9, s[0:1]
	v_cmp_le_u32_e32 vcc, s23, v7
	v_add_co_u32_e64 v14, s[0:1], 1, v8
	v_cndmask_b32_e64 v11, 0, -1, vcc
	v_cmp_le_u32_e32 vcc, s22, v6
	v_addc_co_u32_e64 v15, s[0:1], 0, v9, s[0:1]
	v_cndmask_b32_e64 v6, 0, -1, vcc
	v_cmp_eq_u32_e32 vcc, s23, v7
	v_cmp_ne_u32_e64 s[0:1], 0, v10
	v_cndmask_b32_e32 v6, v11, v6, vcc
	v_cndmask_b32_e64 v10, v15, v13, s[0:1]
	v_cmp_ne_u32_e32 vcc, 0, v6
	v_cndmask_b32_e64 v7, v14, v12, s[0:1]
	v_cndmask_b32_e32 v6, v9, v10, vcc
	v_cndmask_b32_e32 v7, v8, v7, vcc
	v_xor_b32_e32 v8, v6, v3
	v_xor_b32_e32 v6, v7, v3
	v_sub_co_u32_e32 v6, vcc, v6, v3
	v_subb_co_u32_e32 v7, vcc, v8, v3, vcc
.LBB1_5:                                ;   in Loop: Header=BB1_3 Depth=1
	s_andn2_saveexec_b64 s[0:1], s[20:21]
	s_cbranch_execz .LBB1_7
; %bb.6:                                ;   in Loop: Header=BB1_3 Depth=1
	v_cvt_f32_u32_e32 v3, s25
	s_sub_i32 s19, 0, s25
	v_rcp_iflag_f32_e32 v3, v3
	v_mul_f32_e32 v3, 0x4f7ffffe, v3
	v_cvt_u32_f32_e32 v3, v3
	v_mul_lo_u32 v6, s19, v3
	v_mul_hi_u32 v6, v3, v6
	v_add_u32_e32 v3, v3, v6
	v_mul_hi_u32 v3, v0, v3
	v_mul_lo_u32 v6, v3, s25
	v_add_u32_e32 v7, 1, v3
	v_sub_u32_e32 v6, v0, v6
	v_subrev_u32_e32 v8, s25, v6
	v_cmp_le_u32_e32 vcc, s25, v6
	v_cndmask_b32_e32 v6, v6, v8, vcc
	v_cndmask_b32_e32 v3, v3, v7, vcc
	v_add_u32_e32 v7, 1, v3
	v_cmp_le_u32_e32 vcc, s25, v6
	v_cndmask_b32_e32 v6, v3, v7, vcc
	v_mov_b32_e32 v7, v2
.LBB1_7:                                ;   in Loop: Header=BB1_3 Depth=1
	s_or_b64 exec, exec, s[0:1]
	v_mad_u64_u32 v[8:9], s[0:1], s26, v6, v[0:1]
	v_mul_lo_u32 v3, s26, v7
	v_mul_lo_u32 v10, s27, v6
	v_add3_u32 v9, v10, v9, v3
	v_cmp_le_i64_e32 vcc, s[4:5], v[8:9]
                                        ; implicit-def: $vgpr8_vgpr9
	s_and_saveexec_b64 s[0:1], vcc
	s_xor_b64 s[0:1], exec, s[0:1]
	s_cbranch_execz .LBB1_9
; %bb.8:                                ;   in Loop: Header=BB1_3 Depth=1
	v_not_b32_e32 v3, v7
	v_not_b32_e32 v6, v6
	v_lshlrev_b32_e32 v7, 2, v6
	v_alignbit_b32 v3, v3, v6, 30
	v_mul_lo_u32 v3, s4, v3
	v_mul_lo_u32 v8, s5, v7
	v_mad_u64_u32 v[6:7], s[20:21], s4, v7, v[4:5]
	v_add3_u32 v3, v8, v7, v3
	v_mov_b32_e32 v7, s11
	v_add_co_u32_e32 v8, vcc, s10, v6
	v_addc_co_u32_e32 v9, vcc, v7, v3, vcc
                                        ; implicit-def: $vgpr6_vgpr7
.LBB1_9:                                ;   in Loop: Header=BB1_3 Depth=1
	s_andn2_saveexec_b64 s[0:1], s[0:1]
	s_cbranch_execz .LBB1_2
; %bb.10:                               ;   in Loop: Header=BB1_3 Depth=1
	v_mul_lo_u32 v3, v7, s25
	v_mul_lo_u32 v10, v6, s24
	v_mad_u64_u32 v[8:9], s[20:21], v6, s25, 0
	v_mul_lo_u32 v11, v6, s5
	v_add3_u32 v3, v9, v10, v3
	v_mul_lo_u32 v10, v7, s4
	v_mad_u64_u32 v[6:7], s[20:21], v6, s4, 0
	v_sub_co_u32_e32 v8, vcc, v0, v8
	v_add3_u32 v7, v7, v11, v10
	v_lshlrev_b64 v[6:7], 2, v[6:7]
	v_subb_co_u32_e32 v9, vcc, v1, v3, vcc
	v_mov_b32_e32 v3, s9
	v_add_co_u32_e32 v10, vcc, s8, v6
	v_addc_co_u32_e32 v3, vcc, v3, v7, vcc
	v_lshlrev_b64 v[6:7], 2, v[8:9]
	v_add_co_u32_e32 v8, vcc, v10, v6
	v_addc_co_u32_e32 v9, vcc, v3, v7, vcc
	s_branch .LBB1_2
.LBB1_11:
	s_endpgm
	.section	.rodata,"a",@progbits
	.p2align	6, 0x0
	.amdhsa_kernel _ZL15concat_f32_contILi1EEvPKfS1_Pfllllll
		.amdhsa_group_segment_fixed_size 0
		.amdhsa_private_segment_fixed_size 0
		.amdhsa_kernarg_size 328
		.amdhsa_user_sgpr_count 6
		.amdhsa_user_sgpr_private_segment_buffer 1
		.amdhsa_user_sgpr_dispatch_ptr 0
		.amdhsa_user_sgpr_queue_ptr 0
		.amdhsa_user_sgpr_kernarg_segment_ptr 1
		.amdhsa_user_sgpr_dispatch_id 0
		.amdhsa_user_sgpr_flat_scratch_init 0
		.amdhsa_user_sgpr_private_segment_size 0
		.amdhsa_uses_dynamic_stack 0
		.amdhsa_system_sgpr_private_segment_wavefront_offset 0
		.amdhsa_system_sgpr_workgroup_id_x 1
		.amdhsa_system_sgpr_workgroup_id_y 0
		.amdhsa_system_sgpr_workgroup_id_z 0
		.amdhsa_system_sgpr_workgroup_info 0
		.amdhsa_system_vgpr_workitem_id 0
		.amdhsa_next_free_vgpr 16
		.amdhsa_next_free_sgpr 36
		.amdhsa_reserve_vcc 1
		.amdhsa_reserve_flat_scratch 0
		.amdhsa_float_round_mode_32 0
		.amdhsa_float_round_mode_16_64 0
		.amdhsa_float_denorm_mode_32 3
		.amdhsa_float_denorm_mode_16_64 3
		.amdhsa_dx10_clamp 1
		.amdhsa_ieee_mode 1
		.amdhsa_fp16_overflow 0
		.amdhsa_exception_fp_ieee_invalid_op 0
		.amdhsa_exception_fp_denorm_src 0
		.amdhsa_exception_fp_ieee_div_zero 0
		.amdhsa_exception_fp_ieee_overflow 0
		.amdhsa_exception_fp_ieee_underflow 0
		.amdhsa_exception_fp_ieee_inexact 0
		.amdhsa_exception_int_div_zero 0
	.end_amdhsa_kernel
	.section	.text._ZL15concat_f32_contILi1EEvPKfS1_Pfllllll,"axG",@progbits,_ZL15concat_f32_contILi1EEvPKfS1_Pfllllll,comdat
.Lfunc_end1:
	.size	_ZL15concat_f32_contILi1EEvPKfS1_Pfllllll, .Lfunc_end1-_ZL15concat_f32_contILi1EEvPKfS1_Pfllllll
                                        ; -- End function
	.set _ZL15concat_f32_contILi1EEvPKfS1_Pfllllll.num_vgpr, 16
	.set _ZL15concat_f32_contILi1EEvPKfS1_Pfllllll.num_agpr, 0
	.set _ZL15concat_f32_contILi1EEvPKfS1_Pfllllll.numbered_sgpr, 36
	.set _ZL15concat_f32_contILi1EEvPKfS1_Pfllllll.num_named_barrier, 0
	.set _ZL15concat_f32_contILi1EEvPKfS1_Pfllllll.private_seg_size, 0
	.set _ZL15concat_f32_contILi1EEvPKfS1_Pfllllll.uses_vcc, 1
	.set _ZL15concat_f32_contILi1EEvPKfS1_Pfllllll.uses_flat_scratch, 0
	.set _ZL15concat_f32_contILi1EEvPKfS1_Pfllllll.has_dyn_sized_stack, 0
	.set _ZL15concat_f32_contILi1EEvPKfS1_Pfllllll.has_recursion, 0
	.set _ZL15concat_f32_contILi1EEvPKfS1_Pfllllll.has_indirect_call, 0
	.section	.AMDGPU.csdata,"",@progbits
; Kernel info:
; codeLenInByte = 1280
; TotalNumSgprs: 40
; NumVgprs: 16
; ScratchSize: 0
; MemoryBound: 0
; FloatMode: 240
; IeeeMode: 1
; LDSByteSize: 0 bytes/workgroup (compile time only)
; SGPRBlocks: 4
; VGPRBlocks: 3
; NumSGPRsForWavesPerEU: 40
; NumVGPRsForWavesPerEU: 16
; Occupancy: 10
; WaveLimiterHint : 0
; COMPUTE_PGM_RSRC2:SCRATCH_EN: 0
; COMPUTE_PGM_RSRC2:USER_SGPR: 6
; COMPUTE_PGM_RSRC2:TRAP_HANDLER: 0
; COMPUTE_PGM_RSRC2:TGID_X_EN: 1
; COMPUTE_PGM_RSRC2:TGID_Y_EN: 0
; COMPUTE_PGM_RSRC2:TGID_Z_EN: 0
; COMPUTE_PGM_RSRC2:TIDIG_COMP_CNT: 0
	.section	.text._ZL15concat_f32_contILi2EEvPKfS1_Pfllllll,"axG",@progbits,_ZL15concat_f32_contILi2EEvPKfS1_Pfllllll,comdat
	.globl	_ZL15concat_f32_contILi2EEvPKfS1_Pfllllll ; -- Begin function _ZL15concat_f32_contILi2EEvPKfS1_Pfllllll
	.p2align	8
	.type	_ZL15concat_f32_contILi2EEvPKfS1_Pfllllll,@function
_ZL15concat_f32_contILi2EEvPKfS1_Pfllllll: ; @_ZL15concat_f32_contILi2EEvPKfS1_Pfllllll
; %bb.0:
	s_load_dwordx8 s[8:15], s[4:5], 0x28
	s_load_dword s0, s[4:5], 0x54
	s_waitcnt lgkmcnt(0)
	s_mul_i32 s1, s12, s11
	s_mul_hi_u32 s2, s12, s10
	s_add_i32 s1, s2, s1
	s_mul_i32 s2, s13, s10
	s_mul_i32 s7, s12, s10
	s_add_i32 s13, s1, s2
	s_mul_i32 s1, s7, s15
	s_mul_hi_u32 s2, s7, s14
	s_add_i32 s1, s2, s1
	s_mul_i32 s2, s13, s14
	s_add_i32 s3, s1, s2
	s_add_u32 s10, s4, 0x48
	s_addc_u32 s11, s5, 0
	s_and_b32 s12, s0, 0xffff
	s_mul_hi_u32 s1, s12, s6
	s_mul_i32 s0, s12, s6
	v_mov_b32_e32 v2, s1
	v_add_co_u32_e32 v1, vcc, s0, v0
	s_mul_i32 s2, s7, s14
	v_addc_co_u32_e32 v2, vcc, 0, v2, vcc
	v_cmp_gt_i64_e32 vcc, s[2:3], v[1:2]
	s_and_saveexec_b64 s[14:15], vcc
	s_cbranch_execz .LBB2_3
; %bb.1:
	s_load_dwordx4 s[16:19], s[4:5], 0x0
	s_load_dwordx2 s[14:15], s[4:5], 0x10
	s_load_dword s6, s[10:11], 0x0
	s_mul_i32 s4, s7, s9
	s_mul_hi_u32 s5, s7, s8
	s_add_i32 s4, s5, s4
	s_mul_i32 s13, s13, s8
	s_add_i32 s5, s4, s13
	s_mul_i32 s4, s7, s8
	v_lshlrev_b32_e32 v6, 2, v0
	s_lshl_b64 s[8:9], s[4:5], 2
	v_mov_b32_e32 v0, s9
	v_subrev_co_u32_e32 v3, vcc, s8, v6
	v_subb_co_u32_e32 v4, vcc, 0, v0, vcc
	s_waitcnt lgkmcnt(0)
	v_mov_b32_e32 v5, s19
	v_add_co_u32_e32 v0, vcc, s18, v3
	v_addc_co_u32_e32 v3, vcc, v5, v4, vcc
	v_mov_b32_e32 v5, s17
	v_add_co_u32_e32 v4, vcc, s16, v6
	v_addc_co_u32_e32 v5, vcc, 0, v5, vcc
	s_mul_hi_u32 s7, s12, s6
	s_mul_i32 s6, s12, s6
	v_mov_b32_e32 v7, s15
	v_add_co_u32_e32 v6, vcc, s14, v6
	s_lshl_b64 s[8:9], s[0:1], 2
	s_lshl_b64 s[10:11], s[6:7], 2
	v_addc_co_u32_e32 v7, vcc, 0, v7, vcc
	s_mov_b64 s[12:13], 0
	v_mov_b32_e32 v8, s7
.LBB2_2:                                ; =>This Inner Loop Header: Depth=1
	v_mov_b32_e32 v11, s9
	v_add_co_u32_e32 v9, vcc, s8, v0
	v_addc_co_u32_e32 v13, vcc, v3, v11, vcc
	v_add_co_u32_e64 v12, s[0:1], s8, v4
	v_cmp_gt_i64_e32 vcc, s[4:5], v[1:2]
	v_addc_co_u32_e64 v10, s[0:1], v5, v11, s[0:1]
	v_cndmask_b32_e32 v10, v13, v10, vcc
	v_cndmask_b32_e32 v9, v9, v12, vcc
	global_load_dword v12, v[9:10], off
	v_add_co_u32_e32 v9, vcc, s8, v6
	v_addc_co_u32_e32 v10, vcc, v7, v11, vcc
	v_add_co_u32_e32 v1, vcc, s6, v1
	v_addc_co_u32_e32 v2, vcc, v2, v8, vcc
	s_add_u32 s8, s8, s10
	v_cmp_le_i64_e32 vcc, s[2:3], v[1:2]
	s_addc_u32 s9, s9, s11
	s_or_b64 s[12:13], vcc, s[12:13]
	s_waitcnt vmcnt(0)
	global_store_dword v[9:10], v12, off
	s_andn2_b64 exec, exec, s[12:13]
	s_cbranch_execnz .LBB2_2
.LBB2_3:
	s_endpgm
	.section	.rodata,"a",@progbits
	.p2align	6, 0x0
	.amdhsa_kernel _ZL15concat_f32_contILi2EEvPKfS1_Pfllllll
		.amdhsa_group_segment_fixed_size 0
		.amdhsa_private_segment_fixed_size 0
		.amdhsa_kernarg_size 328
		.amdhsa_user_sgpr_count 6
		.amdhsa_user_sgpr_private_segment_buffer 1
		.amdhsa_user_sgpr_dispatch_ptr 0
		.amdhsa_user_sgpr_queue_ptr 0
		.amdhsa_user_sgpr_kernarg_segment_ptr 1
		.amdhsa_user_sgpr_dispatch_id 0
		.amdhsa_user_sgpr_flat_scratch_init 0
		.amdhsa_user_sgpr_private_segment_size 0
		.amdhsa_uses_dynamic_stack 0
		.amdhsa_system_sgpr_private_segment_wavefront_offset 0
		.amdhsa_system_sgpr_workgroup_id_x 1
		.amdhsa_system_sgpr_workgroup_id_y 0
		.amdhsa_system_sgpr_workgroup_id_z 0
		.amdhsa_system_sgpr_workgroup_info 0
		.amdhsa_system_vgpr_workitem_id 0
		.amdhsa_next_free_vgpr 14
		.amdhsa_next_free_sgpr 20
		.amdhsa_reserve_vcc 1
		.amdhsa_reserve_flat_scratch 0
		.amdhsa_float_round_mode_32 0
		.amdhsa_float_round_mode_16_64 0
		.amdhsa_float_denorm_mode_32 3
		.amdhsa_float_denorm_mode_16_64 3
		.amdhsa_dx10_clamp 1
		.amdhsa_ieee_mode 1
		.amdhsa_fp16_overflow 0
		.amdhsa_exception_fp_ieee_invalid_op 0
		.amdhsa_exception_fp_denorm_src 0
		.amdhsa_exception_fp_ieee_div_zero 0
		.amdhsa_exception_fp_ieee_overflow 0
		.amdhsa_exception_fp_ieee_underflow 0
		.amdhsa_exception_fp_ieee_inexact 0
		.amdhsa_exception_int_div_zero 0
	.end_amdhsa_kernel
	.section	.text._ZL15concat_f32_contILi2EEvPKfS1_Pfllllll,"axG",@progbits,_ZL15concat_f32_contILi2EEvPKfS1_Pfllllll,comdat
.Lfunc_end2:
	.size	_ZL15concat_f32_contILi2EEvPKfS1_Pfllllll, .Lfunc_end2-_ZL15concat_f32_contILi2EEvPKfS1_Pfllllll
                                        ; -- End function
	.set _ZL15concat_f32_contILi2EEvPKfS1_Pfllllll.num_vgpr, 14
	.set _ZL15concat_f32_contILi2EEvPKfS1_Pfllllll.num_agpr, 0
	.set _ZL15concat_f32_contILi2EEvPKfS1_Pfllllll.numbered_sgpr, 20
	.set _ZL15concat_f32_contILi2EEvPKfS1_Pfllllll.num_named_barrier, 0
	.set _ZL15concat_f32_contILi2EEvPKfS1_Pfllllll.private_seg_size, 0
	.set _ZL15concat_f32_contILi2EEvPKfS1_Pfllllll.uses_vcc, 1
	.set _ZL15concat_f32_contILi2EEvPKfS1_Pfllllll.uses_flat_scratch, 0
	.set _ZL15concat_f32_contILi2EEvPKfS1_Pfllllll.has_dyn_sized_stack, 0
	.set _ZL15concat_f32_contILi2EEvPKfS1_Pfllllll.has_recursion, 0
	.set _ZL15concat_f32_contILi2EEvPKfS1_Pfllllll.has_indirect_call, 0
	.section	.AMDGPU.csdata,"",@progbits
; Kernel info:
; codeLenInByte = 356
; TotalNumSgprs: 24
; NumVgprs: 14
; ScratchSize: 0
; MemoryBound: 0
; FloatMode: 240
; IeeeMode: 1
; LDSByteSize: 0 bytes/workgroup (compile time only)
; SGPRBlocks: 2
; VGPRBlocks: 3
; NumSGPRsForWavesPerEU: 24
; NumVGPRsForWavesPerEU: 14
; Occupancy: 10
; WaveLimiterHint : 0
; COMPUTE_PGM_RSRC2:SCRATCH_EN: 0
; COMPUTE_PGM_RSRC2:USER_SGPR: 6
; COMPUTE_PGM_RSRC2:TRAP_HANDLER: 0
; COMPUTE_PGM_RSRC2:TGID_X_EN: 1
; COMPUTE_PGM_RSRC2:TGID_Y_EN: 0
; COMPUTE_PGM_RSRC2:TGID_Z_EN: 0
; COMPUTE_PGM_RSRC2:TIDIG_COMP_CNT: 0
	.section	.text._ZL19concat_f32_non_contILi0EEvPKcS1_Pcllllmmmmllllmmmmllllmmmm,"axG",@progbits,_ZL19concat_f32_non_contILi0EEvPKcS1_Pcllllmmmmllllmmmmllllmmmm,comdat
	.globl	_ZL19concat_f32_non_contILi0EEvPKcS1_Pcllllmmmmllllmmmmllllmmmm ; -- Begin function _ZL19concat_f32_non_contILi0EEvPKcS1_Pcllllmmmmllllmmmmllllmmmm
	.p2align	8
	.type	_ZL19concat_f32_non_contILi0EEvPKcS1_Pcllllmmmmllllmmmmllllmmmm,@function
_ZL19concat_f32_non_contILi0EEvPKcS1_Pcllllmmmmllllmmmmllllmmmm: ; @_ZL19concat_f32_non_contILi0EEvPKcS1_Pcllllmmmmllllmmmmllllmmmm
; %bb.0:
	s_load_dwordx2 s[10:11], s[4:5], 0x98
	v_mov_b32_e32 v1, 0
	s_waitcnt lgkmcnt(0)
	v_cmp_gt_i64_e32 vcc, s[10:11], v[0:1]
	s_and_saveexec_b64 s[0:1], vcc
	s_cbranch_execz .LBB3_5
; %bb.1:
	s_load_dwordx8 s[36:43], s[4:5], 0x78
	s_load_dwordx16 s[12:27], s[4:5], 0x0
	s_load_dwordx4 s[28:31], s[4:5], 0x40
	s_load_dwordx2 s[34:35], s[4:5], 0x50
	s_load_dwordx8 s[44:51], s[4:5], 0xb8
	v_mov_b32_e32 v2, s6
	v_mov_b32_e32 v3, v1
	v_mov_b32_e32 v4, s7
	v_mov_b32_e32 v5, v1
	v_mov_b32_e32 v6, s8
	v_mov_b32_e32 v7, v1
	s_waitcnt lgkmcnt(0)
	v_cmp_gt_i64_e32 vcc, s[20:21], v[2:3]
	v_cmp_gt_i64_e64 s[0:1], s[22:23], v[4:5]
	v_cmp_gt_i64_e64 s[2:3], s[24:25], v[6:7]
	s_and_b64 s[0:1], vcc, s[0:1]
	s_and_b64 s[0:1], s[0:1], s[2:3]
	s_mul_i32 s2, s43, s8
	s_mul_hi_u32 s3, s42, s8
	s_add_i32 s3, s3, s2
	s_mul_i32 s2, s42, s8
	s_add_u32 s2, s14, s2
	s_mul_i32 s9, s41, s7
	s_mul_hi_u32 s14, s40, s7
	s_addc_u32 s3, s15, s3
	s_add_i32 s14, s14, s9
	s_mul_i32 s9, s40, s7
	s_add_u32 s2, s2, s9
	s_addc_u32 s3, s3, s14
	s_mul_i32 s9, s39, s6
	s_mul_hi_u32 s14, s38, s6
	s_add_i32 s14, s14, s9
	s_mul_i32 s9, s38, s6
	s_load_dword s4, s[4:5], 0xe4
	s_add_u32 s2, s2, s9
	s_addc_u32 s3, s3, s14
	s_mul_i32 s9, s35, s8
	s_mul_hi_u32 s14, s34, s8
	s_mul_i32 s23, s51, s8
	s_mul_hi_u32 s24, s50, s8
	s_add_i32 s14, s14, s9
	s_mul_i32 s9, s34, s8
	s_add_i32 s24, s24, s23
	s_mul_i32 s23, s50, s8
	s_mul_i32 s8, s49, s7
	s_mul_hi_u32 s25, s48, s7
	s_mul_i32 s15, s31, s7
	s_mul_hi_u32 s20, s30, s7
	;; [unrolled: 2-line block ×3, first 2 shown]
	s_add_i32 s25, s25, s8
	s_mul_i32 s5, s47, s6
	s_mul_hi_u32 s8, s46, s6
	s_add_i32 s20, s20, s15
	s_mul_i32 s15, s30, s7
	s_add_i32 s22, s22, s21
	s_mul_i32 s21, s28, s6
	s_add_i32 s28, s8, s5
	s_waitcnt lgkmcnt(0)
	s_and_b32 s8, s4, 0xffff
	s_add_u32 s4, s9, s15
	s_addc_u32 s5, s14, s20
	s_add_u32 s4, s4, s21
	s_addc_u32 s5, s5, s22
	s_add_u32 s4, s12, s4
	s_addc_u32 s5, s13, s5
	v_mov_b32_e32 v2, s4
	v_mov_b32_e32 v3, s5
	v_mad_u64_u32 v[2:3], s[4:5], s26, v0, v[2:3]
	s_mul_i32 s4, s27, s8
	s_mul_hi_u32 s5, s26, s8
	s_mul_i32 s7, s48, s7
	s_add_i32 s9, s5, s4
	s_add_u32 s4, s23, s7
	s_mul_i32 s6, s46, s6
	s_addc_u32 s5, s24, s25
	s_add_u32 s4, s4, s6
	s_addc_u32 s5, s5, s28
	s_add_u32 s4, s16, s4
	s_addc_u32 s5, s17, s5
	v_mov_b32_e32 v4, s4
	v_mov_b32_e32 v5, s5
	v_mad_u64_u32 v[4:5], s[4:5], s44, v0, v[4:5]
	s_mul_i32 s12, s26, s8
	s_mul_i32 s14, s44, s8
	v_mad_u64_u32 v[6:7], s[4:5], s27, v0, v[3:4]
	v_mov_b32_e32 v3, v5
	v_mad_u64_u32 v[7:8], s[4:5], s45, v0, v[3:4]
	s_mul_i32 s4, s45, s8
	s_mul_hi_u32 s5, s44, s8
	v_mov_b32_e32 v3, v6
	v_mov_b32_e32 v5, v7
	s_add_i32 s13, s5, s4
	s_mov_b64 s[4:5], 0
	s_xor_b64 s[6:7], s[0:1], -1
	s_branch .LBB3_3
.LBB3_2:                                ;   in Loop: Header=BB3_3 Depth=1
	s_or_b64 exec, exec, s[0:1]
	global_load_dword v6, v[6:7], off
	v_add_co_u32_e32 v0, vcc, s8, v0
	v_addc_co_u32_e32 v1, vcc, 0, v1, vcc
	v_cmp_le_i64_e32 vcc, s[10:11], v[0:1]
	v_mov_b32_e32 v7, s9
	v_mov_b32_e32 v8, s13
	v_add_co_u32_e64 v2, s[0:1], s12, v2
	s_or_b64 s[4:5], vcc, s[4:5]
	v_addc_co_u32_e64 v3, s[0:1], v3, v7, s[0:1]
	s_waitcnt vmcnt(0)
	global_store_dword v[4:5], v6, off
	v_add_co_u32_e32 v4, vcc, s14, v4
	v_addc_co_u32_e32 v5, vcc, v5, v8, vcc
	s_andn2_b64 exec, exec, s[4:5]
	s_cbranch_execz .LBB3_5
.LBB3_3:                                ; =>This Inner Loop Header: Depth=1
	v_cmp_le_i64_e32 vcc, s[18:19], v[0:1]
	v_mov_b32_e32 v7, v3
	s_or_b64 s[16:17], vcc, s[6:7]
	v_mov_b32_e32 v6, v2
	s_and_saveexec_b64 s[0:1], s[16:17]
	s_cbranch_execz .LBB3_2
; %bb.4:                                ;   in Loop: Header=BB3_3 Depth=1
	v_mov_b32_e32 v6, s19
	v_subrev_co_u32_e32 v8, vcc, s18, v0
	v_subb_co_u32_e32 v6, vcc, v1, v6, vcc
	v_mul_lo_u32 v10, v6, s36
	v_mov_b32_e32 v7, s3
	v_mov_b32_e32 v6, s2
	v_mul_lo_u32 v9, v8, s37
	v_mad_u64_u32 v[6:7], s[16:17], v8, s36, v[6:7]
	v_add3_u32 v7, v10, v7, v9
	s_branch .LBB3_2
.LBB3_5:
	s_endpgm
	.section	.rodata,"a",@progbits
	.p2align	6, 0x0
	.amdhsa_kernel _ZL19concat_f32_non_contILi0EEvPKcS1_Pcllllmmmmllllmmmmllllmmmm
		.amdhsa_group_segment_fixed_size 0
		.amdhsa_private_segment_fixed_size 0
		.amdhsa_kernarg_size 472
		.amdhsa_user_sgpr_count 6
		.amdhsa_user_sgpr_private_segment_buffer 1
		.amdhsa_user_sgpr_dispatch_ptr 0
		.amdhsa_user_sgpr_queue_ptr 0
		.amdhsa_user_sgpr_kernarg_segment_ptr 1
		.amdhsa_user_sgpr_dispatch_id 0
		.amdhsa_user_sgpr_flat_scratch_init 0
		.amdhsa_user_sgpr_private_segment_size 0
		.amdhsa_uses_dynamic_stack 0
		.amdhsa_system_sgpr_private_segment_wavefront_offset 0
		.amdhsa_system_sgpr_workgroup_id_x 1
		.amdhsa_system_sgpr_workgroup_id_y 1
		.amdhsa_system_sgpr_workgroup_id_z 1
		.amdhsa_system_sgpr_workgroup_info 0
		.amdhsa_system_vgpr_workitem_id 0
		.amdhsa_next_free_vgpr 11
		.amdhsa_next_free_sgpr 52
		.amdhsa_reserve_vcc 1
		.amdhsa_reserve_flat_scratch 0
		.amdhsa_float_round_mode_32 0
		.amdhsa_float_round_mode_16_64 0
		.amdhsa_float_denorm_mode_32 3
		.amdhsa_float_denorm_mode_16_64 3
		.amdhsa_dx10_clamp 1
		.amdhsa_ieee_mode 1
		.amdhsa_fp16_overflow 0
		.amdhsa_exception_fp_ieee_invalid_op 0
		.amdhsa_exception_fp_denorm_src 0
		.amdhsa_exception_fp_ieee_div_zero 0
		.amdhsa_exception_fp_ieee_overflow 0
		.amdhsa_exception_fp_ieee_underflow 0
		.amdhsa_exception_fp_ieee_inexact 0
		.amdhsa_exception_int_div_zero 0
	.end_amdhsa_kernel
	.section	.text._ZL19concat_f32_non_contILi0EEvPKcS1_Pcllllmmmmllllmmmmllllmmmm,"axG",@progbits,_ZL19concat_f32_non_contILi0EEvPKcS1_Pcllllmmmmllllmmmmllllmmmm,comdat
.Lfunc_end3:
	.size	_ZL19concat_f32_non_contILi0EEvPKcS1_Pcllllmmmmllllmmmmllllmmmm, .Lfunc_end3-_ZL19concat_f32_non_contILi0EEvPKcS1_Pcllllmmmmllllmmmmllllmmmm
                                        ; -- End function
	.set _ZL19concat_f32_non_contILi0EEvPKcS1_Pcllllmmmmllllmmmmllllmmmm.num_vgpr, 11
	.set _ZL19concat_f32_non_contILi0EEvPKcS1_Pcllllmmmmllllmmmmllllmmmm.num_agpr, 0
	.set _ZL19concat_f32_non_contILi0EEvPKcS1_Pcllllmmmmllllmmmmllllmmmm.numbered_sgpr, 52
	.set _ZL19concat_f32_non_contILi0EEvPKcS1_Pcllllmmmmllllmmmmllllmmmm.num_named_barrier, 0
	.set _ZL19concat_f32_non_contILi0EEvPKcS1_Pcllllmmmmllllmmmmllllmmmm.private_seg_size, 0
	.set _ZL19concat_f32_non_contILi0EEvPKcS1_Pcllllmmmmllllmmmmllllmmmm.uses_vcc, 1
	.set _ZL19concat_f32_non_contILi0EEvPKcS1_Pcllllmmmmllllmmmmllllmmmm.uses_flat_scratch, 0
	.set _ZL19concat_f32_non_contILi0EEvPKcS1_Pcllllmmmmllllmmmmllllmmmm.has_dyn_sized_stack, 0
	.set _ZL19concat_f32_non_contILi0EEvPKcS1_Pcllllmmmmllllmmmmllllmmmm.has_recursion, 0
	.set _ZL19concat_f32_non_contILi0EEvPKcS1_Pcllllmmmmllllmmmmllllmmmm.has_indirect_call, 0
	.section	.AMDGPU.csdata,"",@progbits
; Kernel info:
; codeLenInByte = 628
; TotalNumSgprs: 56
; NumVgprs: 11
; ScratchSize: 0
; MemoryBound: 0
; FloatMode: 240
; IeeeMode: 1
; LDSByteSize: 0 bytes/workgroup (compile time only)
; SGPRBlocks: 6
; VGPRBlocks: 2
; NumSGPRsForWavesPerEU: 56
; NumVGPRsForWavesPerEU: 11
; Occupancy: 10
; WaveLimiterHint : 1
; COMPUTE_PGM_RSRC2:SCRATCH_EN: 0
; COMPUTE_PGM_RSRC2:USER_SGPR: 6
; COMPUTE_PGM_RSRC2:TRAP_HANDLER: 0
; COMPUTE_PGM_RSRC2:TGID_X_EN: 1
; COMPUTE_PGM_RSRC2:TGID_Y_EN: 1
; COMPUTE_PGM_RSRC2:TGID_Z_EN: 1
; COMPUTE_PGM_RSRC2:TIDIG_COMP_CNT: 0
	.section	.text._ZL19concat_f32_non_contILi1EEvPKcS1_Pcllllmmmmllllmmmmllllmmmm,"axG",@progbits,_ZL19concat_f32_non_contILi1EEvPKcS1_Pcllllmmmmllllmmmmllllmmmm,comdat
	.globl	_ZL19concat_f32_non_contILi1EEvPKcS1_Pcllllmmmmllllmmmmllllmmmm ; -- Begin function _ZL19concat_f32_non_contILi1EEvPKcS1_Pcllllmmmmllllmmmmllllmmmm
	.p2align	8
	.type	_ZL19concat_f32_non_contILi1EEvPKcS1_Pcllllmmmmllllmmmmllllmmmm,@function
_ZL19concat_f32_non_contILi1EEvPKcS1_Pcllllmmmmllllmmmmllllmmmm: ; @_ZL19concat_f32_non_contILi1EEvPKcS1_Pcllllmmmmllllmmmmllllmmmm
; %bb.0:
	s_load_dwordx2 s[34:35], s[4:5], 0x98
	v_mov_b32_e32 v1, 0
	s_waitcnt lgkmcnt(0)
	v_cmp_gt_i64_e32 vcc, s[34:35], v[0:1]
	s_and_saveexec_b64 s[2:3], vcc
	s_cbranch_execz .LBB4_3
; %bb.1:
	s_load_dwordx8 s[36:43], s[4:5], 0x78
	s_load_dwordx16 s[12:27], s[4:5], 0x0
	s_load_dwordx4 s[28:31], s[4:5], 0x40
	s_load_dwordx2 s[52:53], s[4:5], 0x50
	s_load_dwordx8 s[44:51], s[4:5], 0xb8
	s_mov_b32 s0, s7
	v_mov_b32_e32 v2, s0
	v_mov_b32_e32 v3, v1
	;; [unrolled: 1-line block ×4, first 2 shown]
	s_waitcnt lgkmcnt(0)
	v_mov_b32_e32 v6, s20
	s_mov_b32 s7, 0
	v_mov_b32_e32 v7, s21
	v_cmp_gt_i64_e32 vcc, s[22:23], v[2:3]
	v_cmp_gt_i64_e64 s[2:3], s[24:25], v[4:5]
	v_cmp_lt_i64_e64 s[10:11], s[6:7], v[6:7]
	s_and_b64 s[2:3], vcc, s[2:3]
	s_mul_i32 s1, s43, s8
	s_mul_hi_u32 s7, s42, s8
	s_and_b64 s[2:3], s[2:3], s[10:11]
	s_add_i32 s7, s7, s1
	s_mul_i32 s1, s42, s8
	s_add_u32 s1, s14, s1
	s_mul_i32 s9, s41, s0
	s_mul_hi_u32 s10, s40, s0
	s_addc_u32 s7, s15, s7
	s_add_i32 s10, s10, s9
	s_mul_i32 s9, s40, s0
	s_add_u32 s1, s1, s9
	s_addc_u32 s7, s7, s10
	s_sub_u32 s9, s6, s20
	s_subb_u32 s10, 0, s21
	s_mul_i32 s10, s38, s10
	s_mul_hi_u32 s11, s38, s9
	s_add_i32 s10, s11, s10
	s_mul_i32 s11, s39, s9
	s_add_i32 s10, s10, s11
	s_mul_i32 s9, s38, s9
	s_add_u32 s9, s1, s9
	s_addc_u32 s7, s7, s10
	s_mul_i32 s1, s53, s8
	s_mul_hi_u32 s10, s52, s8
	s_add_i32 s10, s10, s1
	s_mul_i32 s1, s52, s8
	s_add_u32 s1, s12, s1
	s_mul_i32 s11, s31, s0
	s_mul_hi_u32 s12, s30, s0
	s_addc_u32 s10, s13, s10
	s_add_i32 s12, s12, s11
	s_mul_i32 s11, s30, s0
	s_add_u32 s1, s1, s11
	s_addc_u32 s10, s10, s12
	s_mul_i32 s11, s29, s6
	s_mul_hi_u32 s12, s28, s6
	s_add_i32 s12, s12, s11
	s_mul_i32 s11, s28, s6
	s_load_dword s4, s[4:5], 0xe4
	s_add_u32 s11, s1, s11
	s_addc_u32 s10, s10, s12
	s_mul_i32 s1, s51, s8
	s_mul_hi_u32 s12, s50, s8
	s_add_i32 s12, s12, s1
	s_mul_i32 s1, s50, s8
	s_mul_i32 s8, s49, s0
	s_mul_hi_u32 s13, s48, s0
	s_add_i32 s13, s13, s8
	s_mul_i32 s5, s47, s6
	s_mul_hi_u32 s8, s46, s6
	s_mul_i32 s0, s48, s0
	s_add_i32 s8, s8, s5
	s_waitcnt lgkmcnt(0)
	s_and_b32 s4, s4, 0xffff
	s_add_u32 s0, s1, s0
	s_mul_i32 s5, s46, s6
	s_addc_u32 s1, s12, s13
	s_add_u32 s0, s0, s5
	s_addc_u32 s1, s1, s8
	s_add_u32 s0, s16, s0
	s_addc_u32 s1, s17, s1
	v_mov_b32_e32 v3, s1
	v_mov_b32_e32 v2, s0
	v_mad_u64_u32 v[2:3], s[0:1], s44, v0, v[2:3]
	s_mul_i32 s5, s44, s4
	v_mov_b32_e32 v5, s27
	v_mad_u64_u32 v[3:4], s[0:1], s45, v0, v[3:4]
	s_mul_i32 s0, s45, s4
	s_mul_hi_u32 s1, s44, s4
	s_add_i32 s6, s1, s0
	s_mov_b64 s[0:1], 0
	v_mov_b32_e32 v4, s37
	v_mov_b32_e32 v6, s36
	;; [unrolled: 1-line block ×8, first 2 shown]
.LBB4_2:                                ; =>This Inner Loop Header: Depth=1
	v_cmp_gt_i64_e32 vcc, s[18:19], v[0:1]
	s_and_b64 vcc, vcc, s[2:3]
	v_cndmask_b32_e32 v15, v4, v5, vcc
	v_cndmask_b32_e32 v16, v6, v7, vcc
	;; [unrolled: 1-line block ×4, first 2 shown]
	v_mul_lo_u32 v15, v0, v15
	v_mad_u64_u32 v[13:14], s[6:7], v0, v16, v[13:14]
	v_mul_lo_u32 v16, v1, v16
	v_add_co_u32_e32 v0, vcc, s4, v0
	v_addc_co_u32_e32 v1, vcc, 0, v1, vcc
	v_add3_u32 v14, v16, v14, v15
	global_load_dword v13, v[13:14], off
	v_cmp_le_i64_e32 vcc, s[34:35], v[0:1]
	s_or_b64 s[0:1], vcc, s[0:1]
	s_waitcnt vmcnt(0)
	global_store_dword v[2:3], v13, off
	v_add_co_u32_e32 v2, vcc, s5, v2
	v_addc_co_u32_e32 v3, vcc, v3, v12, vcc
	s_andn2_b64 exec, exec, s[0:1]
	s_cbranch_execnz .LBB4_2
.LBB4_3:
	s_endpgm
	.section	.rodata,"a",@progbits
	.p2align	6, 0x0
	.amdhsa_kernel _ZL19concat_f32_non_contILi1EEvPKcS1_Pcllllmmmmllllmmmmllllmmmm
		.amdhsa_group_segment_fixed_size 0
		.amdhsa_private_segment_fixed_size 0
		.amdhsa_kernarg_size 472
		.amdhsa_user_sgpr_count 6
		.amdhsa_user_sgpr_private_segment_buffer 1
		.amdhsa_user_sgpr_dispatch_ptr 0
		.amdhsa_user_sgpr_queue_ptr 0
		.amdhsa_user_sgpr_kernarg_segment_ptr 1
		.amdhsa_user_sgpr_dispatch_id 0
		.amdhsa_user_sgpr_flat_scratch_init 0
		.amdhsa_user_sgpr_private_segment_size 0
		.amdhsa_uses_dynamic_stack 0
		.amdhsa_system_sgpr_private_segment_wavefront_offset 0
		.amdhsa_system_sgpr_workgroup_id_x 1
		.amdhsa_system_sgpr_workgroup_id_y 1
		.amdhsa_system_sgpr_workgroup_id_z 1
		.amdhsa_system_sgpr_workgroup_info 0
		.amdhsa_system_vgpr_workitem_id 0
		.amdhsa_next_free_vgpr 17
		.amdhsa_next_free_sgpr 54
		.amdhsa_reserve_vcc 1
		.amdhsa_reserve_flat_scratch 0
		.amdhsa_float_round_mode_32 0
		.amdhsa_float_round_mode_16_64 0
		.amdhsa_float_denorm_mode_32 3
		.amdhsa_float_denorm_mode_16_64 3
		.amdhsa_dx10_clamp 1
		.amdhsa_ieee_mode 1
		.amdhsa_fp16_overflow 0
		.amdhsa_exception_fp_ieee_invalid_op 0
		.amdhsa_exception_fp_denorm_src 0
		.amdhsa_exception_fp_ieee_div_zero 0
		.amdhsa_exception_fp_ieee_overflow 0
		.amdhsa_exception_fp_ieee_underflow 0
		.amdhsa_exception_fp_ieee_inexact 0
		.amdhsa_exception_int_div_zero 0
	.end_amdhsa_kernel
	.section	.text._ZL19concat_f32_non_contILi1EEvPKcS1_Pcllllmmmmllllmmmmllllmmmm,"axG",@progbits,_ZL19concat_f32_non_contILi1EEvPKcS1_Pcllllmmmmllllmmmmllllmmmm,comdat
.Lfunc_end4:
	.size	_ZL19concat_f32_non_contILi1EEvPKcS1_Pcllllmmmmllllmmmmllllmmmm, .Lfunc_end4-_ZL19concat_f32_non_contILi1EEvPKcS1_Pcllllmmmmllllmmmmllllmmmm
                                        ; -- End function
	.set _ZL19concat_f32_non_contILi1EEvPKcS1_Pcllllmmmmllllmmmmllllmmmm.num_vgpr, 17
	.set _ZL19concat_f32_non_contILi1EEvPKcS1_Pcllllmmmmllllmmmmllllmmmm.num_agpr, 0
	.set _ZL19concat_f32_non_contILi1EEvPKcS1_Pcllllmmmmllllmmmmllllmmmm.numbered_sgpr, 54
	.set _ZL19concat_f32_non_contILi1EEvPKcS1_Pcllllmmmmllllmmmmllllmmmm.num_named_barrier, 0
	.set _ZL19concat_f32_non_contILi1EEvPKcS1_Pcllllmmmmllllmmmmllllmmmm.private_seg_size, 0
	.set _ZL19concat_f32_non_contILi1EEvPKcS1_Pcllllmmmmllllmmmmllllmmmm.uses_vcc, 1
	.set _ZL19concat_f32_non_contILi1EEvPKcS1_Pcllllmmmmllllmmmmllllmmmm.uses_flat_scratch, 0
	.set _ZL19concat_f32_non_contILi1EEvPKcS1_Pcllllmmmmllllmmmmllllmmmm.has_dyn_sized_stack, 0
	.set _ZL19concat_f32_non_contILi1EEvPKcS1_Pcllllmmmmllllmmmmllllmmmm.has_recursion, 0
	.set _ZL19concat_f32_non_contILi1EEvPKcS1_Pcllllmmmmllllmmmmllllmmmm.has_indirect_call, 0
	.section	.AMDGPU.csdata,"",@progbits
; Kernel info:
; codeLenInByte = 576
; TotalNumSgprs: 58
; NumVgprs: 17
; ScratchSize: 0
; MemoryBound: 0
; FloatMode: 240
; IeeeMode: 1
; LDSByteSize: 0 bytes/workgroup (compile time only)
; SGPRBlocks: 7
; VGPRBlocks: 4
; NumSGPRsForWavesPerEU: 58
; NumVGPRsForWavesPerEU: 17
; Occupancy: 10
; WaveLimiterHint : 1
; COMPUTE_PGM_RSRC2:SCRATCH_EN: 0
; COMPUTE_PGM_RSRC2:USER_SGPR: 6
; COMPUTE_PGM_RSRC2:TRAP_HANDLER: 0
; COMPUTE_PGM_RSRC2:TGID_X_EN: 1
; COMPUTE_PGM_RSRC2:TGID_Y_EN: 1
; COMPUTE_PGM_RSRC2:TGID_Z_EN: 1
; COMPUTE_PGM_RSRC2:TIDIG_COMP_CNT: 0
	.section	.text._ZL19concat_f32_non_contILi2EEvPKcS1_Pcllllmmmmllllmmmmllllmmmm,"axG",@progbits,_ZL19concat_f32_non_contILi2EEvPKcS1_Pcllllmmmmllllmmmmllllmmmm,comdat
	.globl	_ZL19concat_f32_non_contILi2EEvPKcS1_Pcllllmmmmllllmmmmllllmmmm ; -- Begin function _ZL19concat_f32_non_contILi2EEvPKcS1_Pcllllmmmmllllmmmmllllmmmm
	.p2align	8
	.type	_ZL19concat_f32_non_contILi2EEvPKcS1_Pcllllmmmmllllmmmmllllmmmm,@function
_ZL19concat_f32_non_contILi2EEvPKcS1_Pcllllmmmmllllmmmmllllmmmm: ; @_ZL19concat_f32_non_contILi2EEvPKcS1_Pcllllmmmmllllmmmmllllmmmm
; %bb.0:
	s_load_dwordx2 s[10:11], s[4:5], 0x98
	v_mov_b32_e32 v1, 0
	s_waitcnt lgkmcnt(0)
	v_cmp_gt_i64_e32 vcc, s[10:11], v[0:1]
	s_and_saveexec_b64 s[0:1], vcc
	s_cbranch_execz .LBB5_3
; %bb.1:
	s_load_dwordx8 s[36:43], s[4:5], 0x78
	s_load_dwordx16 s[12:27], s[4:5], 0x0
	s_load_dwordx4 s[28:31], s[4:5], 0x40
	s_load_dwordx2 s[52:53], s[4:5], 0x50
	s_load_dwordx8 s[44:51], s[4:5], 0xb8
	v_mov_b32_e32 v2, s6
	v_mov_b32_e32 v3, v1
	;; [unrolled: 1-line block ×4, first 2 shown]
	s_waitcnt lgkmcnt(0)
	v_cmp_gt_i64_e32 vcc, s[20:21], v[2:3]
	v_mov_b32_e32 v2, s22
	s_mov_b32 s34, s7
	s_mov_b32 s35, 0
	v_mov_b32_e32 v3, s23
	v_cmp_gt_i64_e64 s[0:1], s[24:25], v[4:5]
	v_cmp_lt_i64_e64 s[2:3], s[34:35], v[2:3]
	s_and_b64 s[0:1], vcc, s[0:1]
	s_and_b64 s[0:1], s[0:1], s[2:3]
	s_mul_i32 s2, s43, s8
	s_mul_hi_u32 s3, s42, s8
	s_add_i32 s3, s3, s2
	s_mul_i32 s2, s42, s8
	s_add_u32 s2, s14, s2
	s_addc_u32 s3, s15, s3
	s_sub_u32 s7, s7, s22
	s_subb_u32 s9, 0, s23
	s_mul_i32 s9, s40, s9
	s_mul_hi_u32 s14, s40, s7
	s_add_i32 s9, s14, s9
	s_mul_i32 s14, s41, s7
	s_add_i32 s9, s9, s14
	s_mul_i32 s7, s40, s7
	s_add_u32 s2, s2, s7
	s_addc_u32 s3, s3, s9
	s_mul_i32 s7, s39, s6
	s_mul_hi_u32 s9, s38, s6
	s_add_i32 s9, s9, s7
	s_mul_i32 s7, s38, s6
	s_add_u32 s7, s2, s7
	s_addc_u32 s9, s3, s9
	s_mul_i32 s2, s53, s8
	s_mul_hi_u32 s3, s52, s8
	;; [unrolled: 6-line block ×4, first 2 shown]
	s_load_dword s4, s[4:5], 0xe4
	s_add_i32 s13, s13, s12
	s_mul_i32 s12, s28, s6
	s_add_u32 s12, s2, s12
	s_addc_u32 s13, s3, s13
	s_mul_i32 s2, s51, s8
	s_mul_hi_u32 s3, s50, s8
	s_add_i32 s3, s3, s2
	s_mul_i32 s2, s50, s8
	s_mul_i32 s8, s49, s34
	s_mul_hi_u32 s14, s48, s34
	s_mul_i32 s5, s47, s6
	s_mul_hi_u32 s15, s46, s6
	s_add_i32 s14, s14, s8
	s_mul_i32 s8, s48, s34
	s_add_i32 s15, s15, s5
	s_waitcnt lgkmcnt(0)
	s_and_b32 s4, s4, 0xffff
	s_add_u32 s2, s2, s8
	s_mul_i32 s5, s46, s6
	s_addc_u32 s3, s3, s14
	s_add_u32 s2, s2, s5
	s_addc_u32 s3, s3, s15
	s_add_u32 s2, s16, s2
	s_addc_u32 s3, s17, s3
	v_mov_b32_e32 v2, s2
	v_mov_b32_e32 v3, s3
	v_mad_u64_u32 v[2:3], s[2:3], s44, v0, v[2:3]
	s_mul_i32 s5, s44, s4
	v_mov_b32_e32 v5, s27
	v_mad_u64_u32 v[3:4], s[2:3], s45, v0, v[3:4]
	s_mul_i32 s2, s45, s4
	s_mul_hi_u32 s3, s44, s4
	s_add_i32 s6, s3, s2
	s_mov_b64 s[2:3], 0
	v_mov_b32_e32 v4, s37
	v_mov_b32_e32 v6, s36
	v_mov_b32_e32 v7, s26
	v_mov_b32_e32 v8, s9
	v_mov_b32_e32 v9, s13
	v_mov_b32_e32 v10, s7
	v_mov_b32_e32 v11, s12
	v_mov_b32_e32 v12, s6
.LBB5_2:                                ; =>This Inner Loop Header: Depth=1
	v_cmp_gt_i64_e32 vcc, s[18:19], v[0:1]
	s_and_b64 vcc, vcc, s[0:1]
	v_cndmask_b32_e32 v15, v4, v5, vcc
	v_cndmask_b32_e32 v16, v6, v7, vcc
	;; [unrolled: 1-line block ×4, first 2 shown]
	v_mul_lo_u32 v15, v0, v15
	v_mad_u64_u32 v[13:14], s[6:7], v0, v16, v[13:14]
	v_mul_lo_u32 v16, v1, v16
	v_add_co_u32_e32 v0, vcc, s4, v0
	v_addc_co_u32_e32 v1, vcc, 0, v1, vcc
	v_add3_u32 v14, v16, v14, v15
	global_load_dword v13, v[13:14], off
	v_cmp_le_i64_e32 vcc, s[10:11], v[0:1]
	s_or_b64 s[2:3], vcc, s[2:3]
	s_waitcnt vmcnt(0)
	global_store_dword v[2:3], v13, off
	v_add_co_u32_e32 v2, vcc, s5, v2
	v_addc_co_u32_e32 v3, vcc, v3, v12, vcc
	s_andn2_b64 exec, exec, s[2:3]
	s_cbranch_execnz .LBB5_2
.LBB5_3:
	s_endpgm
	.section	.rodata,"a",@progbits
	.p2align	6, 0x0
	.amdhsa_kernel _ZL19concat_f32_non_contILi2EEvPKcS1_Pcllllmmmmllllmmmmllllmmmm
		.amdhsa_group_segment_fixed_size 0
		.amdhsa_private_segment_fixed_size 0
		.amdhsa_kernarg_size 472
		.amdhsa_user_sgpr_count 6
		.amdhsa_user_sgpr_private_segment_buffer 1
		.amdhsa_user_sgpr_dispatch_ptr 0
		.amdhsa_user_sgpr_queue_ptr 0
		.amdhsa_user_sgpr_kernarg_segment_ptr 1
		.amdhsa_user_sgpr_dispatch_id 0
		.amdhsa_user_sgpr_flat_scratch_init 0
		.amdhsa_user_sgpr_private_segment_size 0
		.amdhsa_uses_dynamic_stack 0
		.amdhsa_system_sgpr_private_segment_wavefront_offset 0
		.amdhsa_system_sgpr_workgroup_id_x 1
		.amdhsa_system_sgpr_workgroup_id_y 1
		.amdhsa_system_sgpr_workgroup_id_z 1
		.amdhsa_system_sgpr_workgroup_info 0
		.amdhsa_system_vgpr_workitem_id 0
		.amdhsa_next_free_vgpr 17
		.amdhsa_next_free_sgpr 54
		.amdhsa_reserve_vcc 1
		.amdhsa_reserve_flat_scratch 0
		.amdhsa_float_round_mode_32 0
		.amdhsa_float_round_mode_16_64 0
		.amdhsa_float_denorm_mode_32 3
		.amdhsa_float_denorm_mode_16_64 3
		.amdhsa_dx10_clamp 1
		.amdhsa_ieee_mode 1
		.amdhsa_fp16_overflow 0
		.amdhsa_exception_fp_ieee_invalid_op 0
		.amdhsa_exception_fp_denorm_src 0
		.amdhsa_exception_fp_ieee_div_zero 0
		.amdhsa_exception_fp_ieee_overflow 0
		.amdhsa_exception_fp_ieee_underflow 0
		.amdhsa_exception_fp_ieee_inexact 0
		.amdhsa_exception_int_div_zero 0
	.end_amdhsa_kernel
	.section	.text._ZL19concat_f32_non_contILi2EEvPKcS1_Pcllllmmmmllllmmmmllllmmmm,"axG",@progbits,_ZL19concat_f32_non_contILi2EEvPKcS1_Pcllllmmmmllllmmmmllllmmmm,comdat
.Lfunc_end5:
	.size	_ZL19concat_f32_non_contILi2EEvPKcS1_Pcllllmmmmllllmmmmllllmmmm, .Lfunc_end5-_ZL19concat_f32_non_contILi2EEvPKcS1_Pcllllmmmmllllmmmmllllmmmm
                                        ; -- End function
	.set _ZL19concat_f32_non_contILi2EEvPKcS1_Pcllllmmmmllllmmmmllllmmmm.num_vgpr, 17
	.set _ZL19concat_f32_non_contILi2EEvPKcS1_Pcllllmmmmllllmmmmllllmmmm.num_agpr, 0
	.set _ZL19concat_f32_non_contILi2EEvPKcS1_Pcllllmmmmllllmmmmllllmmmm.numbered_sgpr, 54
	.set _ZL19concat_f32_non_contILi2EEvPKcS1_Pcllllmmmmllllmmmmllllmmmm.num_named_barrier, 0
	.set _ZL19concat_f32_non_contILi2EEvPKcS1_Pcllllmmmmllllmmmmllllmmmm.private_seg_size, 0
	.set _ZL19concat_f32_non_contILi2EEvPKcS1_Pcllllmmmmllllmmmmllllmmmm.uses_vcc, 1
	.set _ZL19concat_f32_non_contILi2EEvPKcS1_Pcllllmmmmllllmmmmllllmmmm.uses_flat_scratch, 0
	.set _ZL19concat_f32_non_contILi2EEvPKcS1_Pcllllmmmmllllmmmmllllmmmm.has_dyn_sized_stack, 0
	.set _ZL19concat_f32_non_contILi2EEvPKcS1_Pcllllmmmmllllmmmmllllmmmm.has_recursion, 0
	.set _ZL19concat_f32_non_contILi2EEvPKcS1_Pcllllmmmmllllmmmmllllmmmm.has_indirect_call, 0
	.section	.AMDGPU.csdata,"",@progbits
; Kernel info:
; codeLenInByte = 576
; TotalNumSgprs: 58
; NumVgprs: 17
; ScratchSize: 0
; MemoryBound: 0
; FloatMode: 240
; IeeeMode: 1
; LDSByteSize: 0 bytes/workgroup (compile time only)
; SGPRBlocks: 7
; VGPRBlocks: 4
; NumSGPRsForWavesPerEU: 58
; NumVGPRsForWavesPerEU: 17
; Occupancy: 10
; WaveLimiterHint : 1
; COMPUTE_PGM_RSRC2:SCRATCH_EN: 0
; COMPUTE_PGM_RSRC2:USER_SGPR: 6
; COMPUTE_PGM_RSRC2:TRAP_HANDLER: 0
; COMPUTE_PGM_RSRC2:TGID_X_EN: 1
; COMPUTE_PGM_RSRC2:TGID_Y_EN: 1
; COMPUTE_PGM_RSRC2:TGID_Z_EN: 1
; COMPUTE_PGM_RSRC2:TIDIG_COMP_CNT: 0
	.section	.text._ZL19concat_f32_non_contILi3EEvPKcS1_Pcllllmmmmllllmmmmllllmmmm,"axG",@progbits,_ZL19concat_f32_non_contILi3EEvPKcS1_Pcllllmmmmllllmmmmllllmmmm,comdat
	.globl	_ZL19concat_f32_non_contILi3EEvPKcS1_Pcllllmmmmllllmmmmllllmmmm ; -- Begin function _ZL19concat_f32_non_contILi3EEvPKcS1_Pcllllmmmmllllmmmmllllmmmm
	.p2align	8
	.type	_ZL19concat_f32_non_contILi3EEvPKcS1_Pcllllmmmmllllmmmmllllmmmm,@function
_ZL19concat_f32_non_contILi3EEvPKcS1_Pcllllmmmmllllmmmmllllmmmm: ; @_ZL19concat_f32_non_contILi3EEvPKcS1_Pcllllmmmmllllmmmmllllmmmm
; %bb.0:
	s_load_dwordx2 s[10:11], s[4:5], 0x98
	v_mov_b32_e32 v1, 0
	s_waitcnt lgkmcnt(0)
	v_cmp_gt_i64_e32 vcc, s[10:11], v[0:1]
	s_and_saveexec_b64 s[0:1], vcc
	s_cbranch_execz .LBB6_3
; %bb.1:
	s_load_dwordx8 s[36:43], s[4:5], 0x78
	s_load_dwordx16 s[12:27], s[4:5], 0x0
	s_load_dwordx4 s[28:31], s[4:5], 0x40
	s_load_dwordx2 s[34:35], s[4:5], 0x50
	s_load_dwordx8 s[44:51], s[4:5], 0xb8
	v_mov_b32_e32 v2, s6
	v_mov_b32_e32 v3, v1
	;; [unrolled: 1-line block ×4, first 2 shown]
	s_waitcnt lgkmcnt(0)
	v_cmp_gt_i64_e32 vcc, s[20:21], v[2:3]
	v_mov_b32_e32 v2, s24
	s_mov_b32 s9, 0
	v_cmp_gt_i64_e64 s[0:1], s[22:23], v[4:5]
	v_mov_b32_e32 v3, s25
	v_cmp_lt_i64_e64 s[2:3], s[8:9], v[2:3]
	s_and_b64 s[0:1], vcc, s[0:1]
	s_and_b64 s[0:1], s[0:1], s[2:3]
	s_sub_u32 s2, s8, s24
	s_subb_u32 s3, 0, s25
	s_mul_i32 s3, s42, s3
	s_mul_hi_u32 s9, s42, s2
	s_add_i32 s3, s9, s3
	s_mul_i32 s9, s43, s2
	s_add_i32 s3, s3, s9
	s_mul_i32 s2, s42, s2
	s_add_u32 s2, s14, s2
	s_mul_i32 s9, s41, s7
	s_mul_hi_u32 s14, s40, s7
	s_addc_u32 s3, s15, s3
	s_add_i32 s14, s14, s9
	s_mul_i32 s9, s40, s7
	s_add_u32 s2, s2, s9
	s_addc_u32 s3, s3, s14
	s_mul_i32 s9, s39, s6
	s_mul_hi_u32 s14, s38, s6
	s_add_i32 s14, s14, s9
	s_mul_i32 s9, s38, s6
	s_add_u32 s9, s2, s9
	s_addc_u32 s14, s3, s14
	s_mul_i32 s2, s35, s8
	s_mul_hi_u32 s3, s34, s8
	;; [unrolled: 6-line block ×4, first 2 shown]
	s_add_i32 s13, s13, s12
	s_mul_i32 s12, s28, s6
	s_load_dword s4, s[4:5], 0xe4
	s_add_u32 s12, s2, s12
	s_addc_u32 s13, s3, s13
	s_mul_i32 s2, s51, s8
	s_mul_hi_u32 s3, s50, s8
	s_add_i32 s3, s3, s2
	s_mul_i32 s2, s50, s8
	s_mul_i32 s8, s49, s7
	s_mul_hi_u32 s15, s48, s7
	s_add_i32 s15, s15, s8
	s_mul_i32 s5, s47, s6
	s_mul_hi_u32 s8, s46, s6
	s_mul_i32 s7, s48, s7
	s_add_i32 s8, s8, s5
	s_waitcnt lgkmcnt(0)
	s_and_b32 s4, s4, 0xffff
	s_add_u32 s2, s2, s7
	s_mul_i32 s5, s46, s6
	s_addc_u32 s3, s3, s15
	s_add_u32 s2, s2, s5
	s_addc_u32 s3, s3, s8
	s_add_u32 s2, s16, s2
	s_addc_u32 s3, s17, s3
	v_mov_b32_e32 v2, s2
	v_mov_b32_e32 v3, s3
	v_mad_u64_u32 v[2:3], s[2:3], s44, v0, v[2:3]
	s_mul_i32 s5, s44, s4
	v_mov_b32_e32 v5, s27
	v_mad_u64_u32 v[3:4], s[2:3], s45, v0, v[3:4]
	s_mul_i32 s2, s45, s4
	s_mul_hi_u32 s3, s44, s4
	s_add_i32 s6, s3, s2
	s_mov_b64 s[2:3], 0
	v_mov_b32_e32 v4, s37
	v_mov_b32_e32 v6, s36
	;; [unrolled: 1-line block ×8, first 2 shown]
.LBB6_2:                                ; =>This Inner Loop Header: Depth=1
	v_cmp_gt_i64_e32 vcc, s[18:19], v[0:1]
	s_and_b64 vcc, vcc, s[0:1]
	v_cndmask_b32_e32 v15, v4, v5, vcc
	v_cndmask_b32_e32 v16, v6, v7, vcc
	;; [unrolled: 1-line block ×4, first 2 shown]
	v_mul_lo_u32 v15, v0, v15
	v_mad_u64_u32 v[13:14], s[6:7], v0, v16, v[13:14]
	v_mul_lo_u32 v16, v1, v16
	v_add_co_u32_e32 v0, vcc, s4, v0
	v_addc_co_u32_e32 v1, vcc, 0, v1, vcc
	v_add3_u32 v14, v16, v14, v15
	global_load_dword v13, v[13:14], off
	v_cmp_le_i64_e32 vcc, s[10:11], v[0:1]
	s_or_b64 s[2:3], vcc, s[2:3]
	s_waitcnt vmcnt(0)
	global_store_dword v[2:3], v13, off
	v_add_co_u32_e32 v2, vcc, s5, v2
	v_addc_co_u32_e32 v3, vcc, v3, v12, vcc
	s_andn2_b64 exec, exec, s[2:3]
	s_cbranch_execnz .LBB6_2
.LBB6_3:
	s_endpgm
	.section	.rodata,"a",@progbits
	.p2align	6, 0x0
	.amdhsa_kernel _ZL19concat_f32_non_contILi3EEvPKcS1_Pcllllmmmmllllmmmmllllmmmm
		.amdhsa_group_segment_fixed_size 0
		.amdhsa_private_segment_fixed_size 0
		.amdhsa_kernarg_size 472
		.amdhsa_user_sgpr_count 6
		.amdhsa_user_sgpr_private_segment_buffer 1
		.amdhsa_user_sgpr_dispatch_ptr 0
		.amdhsa_user_sgpr_queue_ptr 0
		.amdhsa_user_sgpr_kernarg_segment_ptr 1
		.amdhsa_user_sgpr_dispatch_id 0
		.amdhsa_user_sgpr_flat_scratch_init 0
		.amdhsa_user_sgpr_private_segment_size 0
		.amdhsa_uses_dynamic_stack 0
		.amdhsa_system_sgpr_private_segment_wavefront_offset 0
		.amdhsa_system_sgpr_workgroup_id_x 1
		.amdhsa_system_sgpr_workgroup_id_y 1
		.amdhsa_system_sgpr_workgroup_id_z 1
		.amdhsa_system_sgpr_workgroup_info 0
		.amdhsa_system_vgpr_workitem_id 0
		.amdhsa_next_free_vgpr 17
		.amdhsa_next_free_sgpr 52
		.amdhsa_reserve_vcc 1
		.amdhsa_reserve_flat_scratch 0
		.amdhsa_float_round_mode_32 0
		.amdhsa_float_round_mode_16_64 0
		.amdhsa_float_denorm_mode_32 3
		.amdhsa_float_denorm_mode_16_64 3
		.amdhsa_dx10_clamp 1
		.amdhsa_ieee_mode 1
		.amdhsa_fp16_overflow 0
		.amdhsa_exception_fp_ieee_invalid_op 0
		.amdhsa_exception_fp_denorm_src 0
		.amdhsa_exception_fp_ieee_div_zero 0
		.amdhsa_exception_fp_ieee_overflow 0
		.amdhsa_exception_fp_ieee_underflow 0
		.amdhsa_exception_fp_ieee_inexact 0
		.amdhsa_exception_int_div_zero 0
	.end_amdhsa_kernel
	.section	.text._ZL19concat_f32_non_contILi3EEvPKcS1_Pcllllmmmmllllmmmmllllmmmm,"axG",@progbits,_ZL19concat_f32_non_contILi3EEvPKcS1_Pcllllmmmmllllmmmmllllmmmm,comdat
.Lfunc_end6:
	.size	_ZL19concat_f32_non_contILi3EEvPKcS1_Pcllllmmmmllllmmmmllllmmmm, .Lfunc_end6-_ZL19concat_f32_non_contILi3EEvPKcS1_Pcllllmmmmllllmmmmllllmmmm
                                        ; -- End function
	.set _ZL19concat_f32_non_contILi3EEvPKcS1_Pcllllmmmmllllmmmmllllmmmm.num_vgpr, 17
	.set _ZL19concat_f32_non_contILi3EEvPKcS1_Pcllllmmmmllllmmmmllllmmmm.num_agpr, 0
	.set _ZL19concat_f32_non_contILi3EEvPKcS1_Pcllllmmmmllllmmmmllllmmmm.numbered_sgpr, 52
	.set _ZL19concat_f32_non_contILi3EEvPKcS1_Pcllllmmmmllllmmmmllllmmmm.num_named_barrier, 0
	.set _ZL19concat_f32_non_contILi3EEvPKcS1_Pcllllmmmmllllmmmmllllmmmm.private_seg_size, 0
	.set _ZL19concat_f32_non_contILi3EEvPKcS1_Pcllllmmmmllllmmmmllllmmmm.uses_vcc, 1
	.set _ZL19concat_f32_non_contILi3EEvPKcS1_Pcllllmmmmllllmmmmllllmmmm.uses_flat_scratch, 0
	.set _ZL19concat_f32_non_contILi3EEvPKcS1_Pcllllmmmmllllmmmmllllmmmm.has_dyn_sized_stack, 0
	.set _ZL19concat_f32_non_contILi3EEvPKcS1_Pcllllmmmmllllmmmmllllmmmm.has_recursion, 0
	.set _ZL19concat_f32_non_contILi3EEvPKcS1_Pcllllmmmmllllmmmmllllmmmm.has_indirect_call, 0
	.section	.AMDGPU.csdata,"",@progbits
; Kernel info:
; codeLenInByte = 572
; TotalNumSgprs: 56
; NumVgprs: 17
; ScratchSize: 0
; MemoryBound: 0
; FloatMode: 240
; IeeeMode: 1
; LDSByteSize: 0 bytes/workgroup (compile time only)
; SGPRBlocks: 6
; VGPRBlocks: 4
; NumSGPRsForWavesPerEU: 56
; NumVGPRsForWavesPerEU: 17
; Occupancy: 10
; WaveLimiterHint : 1
; COMPUTE_PGM_RSRC2:SCRATCH_EN: 0
; COMPUTE_PGM_RSRC2:USER_SGPR: 6
; COMPUTE_PGM_RSRC2:TRAP_HANDLER: 0
; COMPUTE_PGM_RSRC2:TGID_X_EN: 1
; COMPUTE_PGM_RSRC2:TGID_Y_EN: 1
; COMPUTE_PGM_RSRC2:TGID_Z_EN: 1
; COMPUTE_PGM_RSRC2:TIDIG_COMP_CNT: 0
	.section	.AMDGPU.gpr_maximums,"",@progbits
	.set amdgpu.max_num_vgpr, 0
	.set amdgpu.max_num_agpr, 0
	.set amdgpu.max_num_sgpr, 0
	.section	.AMDGPU.csdata,"",@progbits
	.type	__hip_cuid_ff861ac087eeb5d1,@object ; @__hip_cuid_ff861ac087eeb5d1
	.section	.bss,"aw",@nobits
	.globl	__hip_cuid_ff861ac087eeb5d1
__hip_cuid_ff861ac087eeb5d1:
	.byte	0                               ; 0x0
	.size	__hip_cuid_ff861ac087eeb5d1, 1

	.ident	"AMD clang version 22.0.0git (https://github.com/RadeonOpenCompute/llvm-project roc-7.2.4 26084 f58b06dce1f9c15707c5f808fd002e18c2accf7e)"
	.section	".note.GNU-stack","",@progbits
	.addrsig
	.addrsig_sym __hip_cuid_ff861ac087eeb5d1
	.amdgpu_metadata
---
amdhsa.kernels:
  - .args:
      - .address_space:  global
        .offset:         0
        .size:           8
        .value_kind:     global_buffer
      - .address_space:  global
        .offset:         8
        .size:           8
        .value_kind:     global_buffer
      - .address_space:  global
        .offset:         16
        .size:           8
        .value_kind:     global_buffer
      - .offset:         24
        .size:           8
        .value_kind:     by_value
      - .offset:         32
        .size:           8
        .value_kind:     by_value
      - .offset:         40
        .size:           8
        .value_kind:     by_value
      - .offset:         48
        .size:           8
        .value_kind:     by_value
      - .offset:         56
        .size:           8
        .value_kind:     by_value
      - .offset:         64
        .size:           8
        .value_kind:     by_value
      - .offset:         72
        .size:           4
        .value_kind:     hidden_block_count_x
      - .offset:         76
        .size:           4
        .value_kind:     hidden_block_count_y
      - .offset:         80
        .size:           4
        .value_kind:     hidden_block_count_z
      - .offset:         84
        .size:           2
        .value_kind:     hidden_group_size_x
      - .offset:         86
        .size:           2
        .value_kind:     hidden_group_size_y
      - .offset:         88
        .size:           2
        .value_kind:     hidden_group_size_z
      - .offset:         90
        .size:           2
        .value_kind:     hidden_remainder_x
      - .offset:         92
        .size:           2
        .value_kind:     hidden_remainder_y
      - .offset:         94
        .size:           2
        .value_kind:     hidden_remainder_z
      - .offset:         112
        .size:           8
        .value_kind:     hidden_global_offset_x
      - .offset:         120
        .size:           8
        .value_kind:     hidden_global_offset_y
      - .offset:         128
        .size:           8
        .value_kind:     hidden_global_offset_z
      - .offset:         136
        .size:           2
        .value_kind:     hidden_grid_dims
    .group_segment_fixed_size: 0
    .kernarg_segment_align: 8
    .kernarg_segment_size: 328
    .language:       OpenCL C
    .language_version:
      - 2
      - 0
    .max_flat_workgroup_size: 256
    .name:           _ZL15concat_f32_contILi0EEvPKfS1_Pfllllll
    .private_segment_fixed_size: 0
    .sgpr_count:     40
    .sgpr_spill_count: 0
    .symbol:         _ZL15concat_f32_contILi0EEvPKfS1_Pfllllll.kd
    .uniform_work_group_size: 1
    .uses_dynamic_stack: false
    .vgpr_count:     18
    .vgpr_spill_count: 0
    .wavefront_size: 64
  - .args:
      - .address_space:  global
        .offset:         0
        .size:           8
        .value_kind:     global_buffer
      - .address_space:  global
        .offset:         8
        .size:           8
        .value_kind:     global_buffer
      - .address_space:  global
        .offset:         16
        .size:           8
        .value_kind:     global_buffer
      - .offset:         24
        .size:           8
        .value_kind:     by_value
      - .offset:         32
        .size:           8
        .value_kind:     by_value
      - .offset:         40
        .size:           8
        .value_kind:     by_value
      - .offset:         48
        .size:           8
        .value_kind:     by_value
      - .offset:         56
        .size:           8
        .value_kind:     by_value
      - .offset:         64
        .size:           8
        .value_kind:     by_value
      - .offset:         72
        .size:           4
        .value_kind:     hidden_block_count_x
      - .offset:         76
        .size:           4
        .value_kind:     hidden_block_count_y
      - .offset:         80
        .size:           4
        .value_kind:     hidden_block_count_z
      - .offset:         84
        .size:           2
        .value_kind:     hidden_group_size_x
      - .offset:         86
        .size:           2
        .value_kind:     hidden_group_size_y
      - .offset:         88
        .size:           2
        .value_kind:     hidden_group_size_z
      - .offset:         90
        .size:           2
        .value_kind:     hidden_remainder_x
      - .offset:         92
        .size:           2
        .value_kind:     hidden_remainder_y
      - .offset:         94
        .size:           2
        .value_kind:     hidden_remainder_z
      - .offset:         112
        .size:           8
        .value_kind:     hidden_global_offset_x
      - .offset:         120
        .size:           8
        .value_kind:     hidden_global_offset_y
      - .offset:         128
        .size:           8
        .value_kind:     hidden_global_offset_z
      - .offset:         136
        .size:           2
        .value_kind:     hidden_grid_dims
    .group_segment_fixed_size: 0
    .kernarg_segment_align: 8
    .kernarg_segment_size: 328
    .language:       OpenCL C
    .language_version:
      - 2
      - 0
    .max_flat_workgroup_size: 256
    .name:           _ZL15concat_f32_contILi1EEvPKfS1_Pfllllll
    .private_segment_fixed_size: 0
    .sgpr_count:     40
    .sgpr_spill_count: 0
    .symbol:         _ZL15concat_f32_contILi1EEvPKfS1_Pfllllll.kd
    .uniform_work_group_size: 1
    .uses_dynamic_stack: false
    .vgpr_count:     16
    .vgpr_spill_count: 0
    .wavefront_size: 64
  - .args:
      - .address_space:  global
        .offset:         0
        .size:           8
        .value_kind:     global_buffer
      - .address_space:  global
        .offset:         8
        .size:           8
        .value_kind:     global_buffer
      - .address_space:  global
        .offset:         16
        .size:           8
        .value_kind:     global_buffer
      - .offset:         24
        .size:           8
        .value_kind:     by_value
      - .offset:         32
        .size:           8
        .value_kind:     by_value
      - .offset:         40
        .size:           8
        .value_kind:     by_value
      - .offset:         48
        .size:           8
        .value_kind:     by_value
      - .offset:         56
        .size:           8
        .value_kind:     by_value
      - .offset:         64
        .size:           8
        .value_kind:     by_value
      - .offset:         72
        .size:           4
        .value_kind:     hidden_block_count_x
      - .offset:         76
        .size:           4
        .value_kind:     hidden_block_count_y
      - .offset:         80
        .size:           4
        .value_kind:     hidden_block_count_z
      - .offset:         84
        .size:           2
        .value_kind:     hidden_group_size_x
      - .offset:         86
        .size:           2
        .value_kind:     hidden_group_size_y
      - .offset:         88
        .size:           2
        .value_kind:     hidden_group_size_z
      - .offset:         90
        .size:           2
        .value_kind:     hidden_remainder_x
      - .offset:         92
        .size:           2
        .value_kind:     hidden_remainder_y
      - .offset:         94
        .size:           2
        .value_kind:     hidden_remainder_z
      - .offset:         112
        .size:           8
        .value_kind:     hidden_global_offset_x
      - .offset:         120
        .size:           8
        .value_kind:     hidden_global_offset_y
      - .offset:         128
        .size:           8
        .value_kind:     hidden_global_offset_z
      - .offset:         136
        .size:           2
        .value_kind:     hidden_grid_dims
    .group_segment_fixed_size: 0
    .kernarg_segment_align: 8
    .kernarg_segment_size: 328
    .language:       OpenCL C
    .language_version:
      - 2
      - 0
    .max_flat_workgroup_size: 256
    .name:           _ZL15concat_f32_contILi2EEvPKfS1_Pfllllll
    .private_segment_fixed_size: 0
    .sgpr_count:     24
    .sgpr_spill_count: 0
    .symbol:         _ZL15concat_f32_contILi2EEvPKfS1_Pfllllll.kd
    .uniform_work_group_size: 1
    .uses_dynamic_stack: false
    .vgpr_count:     14
    .vgpr_spill_count: 0
    .wavefront_size: 64
  - .args:
      - .address_space:  global
        .offset:         0
        .size:           8
        .value_kind:     global_buffer
      - .address_space:  global
        .offset:         8
        .size:           8
        .value_kind:     global_buffer
      - .address_space:  global
        .offset:         16
        .size:           8
        .value_kind:     global_buffer
      - .offset:         24
        .size:           8
        .value_kind:     by_value
      - .offset:         32
        .size:           8
        .value_kind:     by_value
      - .offset:         40
        .size:           8
        .value_kind:     by_value
      - .offset:         48
        .size:           8
        .value_kind:     by_value
      - .offset:         56
        .size:           8
        .value_kind:     by_value
      - .offset:         64
        .size:           8
        .value_kind:     by_value
      - .offset:         72
        .size:           8
        .value_kind:     by_value
      - .offset:         80
        .size:           8
        .value_kind:     by_value
      - .offset:         88
        .size:           8
        .value_kind:     by_value
      - .offset:         96
        .size:           8
        .value_kind:     by_value
      - .offset:         104
        .size:           8
        .value_kind:     by_value
      - .offset:         112
        .size:           8
        .value_kind:     by_value
      - .offset:         120
        .size:           8
        .value_kind:     by_value
      - .offset:         128
        .size:           8
        .value_kind:     by_value
      - .offset:         136
        .size:           8
        .value_kind:     by_value
      - .offset:         144
        .size:           8
        .value_kind:     by_value
      - .offset:         152
        .size:           8
        .value_kind:     by_value
      - .offset:         160
        .size:           8
        .value_kind:     by_value
      - .offset:         168
        .size:           8
        .value_kind:     by_value
      - .offset:         176
        .size:           8
        .value_kind:     by_value
      - .offset:         184
        .size:           8
        .value_kind:     by_value
      - .offset:         192
        .size:           8
        .value_kind:     by_value
      - .offset:         200
        .size:           8
        .value_kind:     by_value
      - .offset:         208
        .size:           8
        .value_kind:     by_value
      - .offset:         216
        .size:           4
        .value_kind:     hidden_block_count_x
      - .offset:         220
        .size:           4
        .value_kind:     hidden_block_count_y
      - .offset:         224
        .size:           4
        .value_kind:     hidden_block_count_z
      - .offset:         228
        .size:           2
        .value_kind:     hidden_group_size_x
      - .offset:         230
        .size:           2
        .value_kind:     hidden_group_size_y
      - .offset:         232
        .size:           2
        .value_kind:     hidden_group_size_z
      - .offset:         234
        .size:           2
        .value_kind:     hidden_remainder_x
      - .offset:         236
        .size:           2
        .value_kind:     hidden_remainder_y
      - .offset:         238
        .size:           2
        .value_kind:     hidden_remainder_z
      - .offset:         256
        .size:           8
        .value_kind:     hidden_global_offset_x
      - .offset:         264
        .size:           8
        .value_kind:     hidden_global_offset_y
      - .offset:         272
        .size:           8
        .value_kind:     hidden_global_offset_z
      - .offset:         280
        .size:           2
        .value_kind:     hidden_grid_dims
    .group_segment_fixed_size: 0
    .kernarg_segment_align: 8
    .kernarg_segment_size: 472
    .language:       OpenCL C
    .language_version:
      - 2
      - 0
    .max_flat_workgroup_size: 256
    .name:           _ZL19concat_f32_non_contILi0EEvPKcS1_Pcllllmmmmllllmmmmllllmmmm
    .private_segment_fixed_size: 0
    .sgpr_count:     56
    .sgpr_spill_count: 0
    .symbol:         _ZL19concat_f32_non_contILi0EEvPKcS1_Pcllllmmmmllllmmmmllllmmmm.kd
    .uniform_work_group_size: 1
    .uses_dynamic_stack: false
    .vgpr_count:     11
    .vgpr_spill_count: 0
    .wavefront_size: 64
  - .args:
      - .address_space:  global
        .offset:         0
        .size:           8
        .value_kind:     global_buffer
      - .address_space:  global
        .offset:         8
        .size:           8
        .value_kind:     global_buffer
      - .address_space:  global
        .offset:         16
        .size:           8
        .value_kind:     global_buffer
      - .offset:         24
        .size:           8
        .value_kind:     by_value
      - .offset:         32
        .size:           8
        .value_kind:     by_value
      - .offset:         40
        .size:           8
        .value_kind:     by_value
      - .offset:         48
        .size:           8
        .value_kind:     by_value
      - .offset:         56
        .size:           8
        .value_kind:     by_value
      - .offset:         64
        .size:           8
        .value_kind:     by_value
      - .offset:         72
        .size:           8
        .value_kind:     by_value
      - .offset:         80
        .size:           8
        .value_kind:     by_value
      - .offset:         88
        .size:           8
        .value_kind:     by_value
      - .offset:         96
        .size:           8
        .value_kind:     by_value
      - .offset:         104
        .size:           8
        .value_kind:     by_value
      - .offset:         112
        .size:           8
        .value_kind:     by_value
      - .offset:         120
        .size:           8
        .value_kind:     by_value
      - .offset:         128
        .size:           8
        .value_kind:     by_value
      - .offset:         136
        .size:           8
        .value_kind:     by_value
      - .offset:         144
        .size:           8
        .value_kind:     by_value
      - .offset:         152
        .size:           8
        .value_kind:     by_value
      - .offset:         160
        .size:           8
        .value_kind:     by_value
      - .offset:         168
        .size:           8
        .value_kind:     by_value
      - .offset:         176
        .size:           8
        .value_kind:     by_value
      - .offset:         184
        .size:           8
        .value_kind:     by_value
      - .offset:         192
        .size:           8
        .value_kind:     by_value
      - .offset:         200
        .size:           8
        .value_kind:     by_value
      - .offset:         208
        .size:           8
        .value_kind:     by_value
      - .offset:         216
        .size:           4
        .value_kind:     hidden_block_count_x
      - .offset:         220
        .size:           4
        .value_kind:     hidden_block_count_y
      - .offset:         224
        .size:           4
        .value_kind:     hidden_block_count_z
      - .offset:         228
        .size:           2
        .value_kind:     hidden_group_size_x
      - .offset:         230
        .size:           2
        .value_kind:     hidden_group_size_y
      - .offset:         232
        .size:           2
        .value_kind:     hidden_group_size_z
      - .offset:         234
        .size:           2
        .value_kind:     hidden_remainder_x
      - .offset:         236
        .size:           2
        .value_kind:     hidden_remainder_y
      - .offset:         238
        .size:           2
        .value_kind:     hidden_remainder_z
      - .offset:         256
        .size:           8
        .value_kind:     hidden_global_offset_x
      - .offset:         264
        .size:           8
        .value_kind:     hidden_global_offset_y
      - .offset:         272
        .size:           8
        .value_kind:     hidden_global_offset_z
      - .offset:         280
        .size:           2
        .value_kind:     hidden_grid_dims
    .group_segment_fixed_size: 0
    .kernarg_segment_align: 8
    .kernarg_segment_size: 472
    .language:       OpenCL C
    .language_version:
      - 2
      - 0
    .max_flat_workgroup_size: 256
    .name:           _ZL19concat_f32_non_contILi1EEvPKcS1_Pcllllmmmmllllmmmmllllmmmm
    .private_segment_fixed_size: 0
    .sgpr_count:     58
    .sgpr_spill_count: 0
    .symbol:         _ZL19concat_f32_non_contILi1EEvPKcS1_Pcllllmmmmllllmmmmllllmmmm.kd
    .uniform_work_group_size: 1
    .uses_dynamic_stack: false
    .vgpr_count:     17
    .vgpr_spill_count: 0
    .wavefront_size: 64
  - .args:
      - .address_space:  global
        .offset:         0
        .size:           8
        .value_kind:     global_buffer
      - .address_space:  global
        .offset:         8
        .size:           8
        .value_kind:     global_buffer
      - .address_space:  global
        .offset:         16
        .size:           8
        .value_kind:     global_buffer
      - .offset:         24
        .size:           8
        .value_kind:     by_value
      - .offset:         32
        .size:           8
        .value_kind:     by_value
      - .offset:         40
        .size:           8
        .value_kind:     by_value
      - .offset:         48
        .size:           8
        .value_kind:     by_value
      - .offset:         56
        .size:           8
        .value_kind:     by_value
      - .offset:         64
        .size:           8
        .value_kind:     by_value
      - .offset:         72
        .size:           8
        .value_kind:     by_value
      - .offset:         80
        .size:           8
        .value_kind:     by_value
      - .offset:         88
        .size:           8
        .value_kind:     by_value
      - .offset:         96
        .size:           8
        .value_kind:     by_value
      - .offset:         104
        .size:           8
        .value_kind:     by_value
      - .offset:         112
        .size:           8
        .value_kind:     by_value
      - .offset:         120
        .size:           8
        .value_kind:     by_value
      - .offset:         128
        .size:           8
        .value_kind:     by_value
      - .offset:         136
        .size:           8
        .value_kind:     by_value
      - .offset:         144
        .size:           8
        .value_kind:     by_value
      - .offset:         152
        .size:           8
        .value_kind:     by_value
      - .offset:         160
        .size:           8
        .value_kind:     by_value
      - .offset:         168
        .size:           8
        .value_kind:     by_value
      - .offset:         176
        .size:           8
        .value_kind:     by_value
      - .offset:         184
        .size:           8
        .value_kind:     by_value
      - .offset:         192
        .size:           8
        .value_kind:     by_value
      - .offset:         200
        .size:           8
        .value_kind:     by_value
      - .offset:         208
        .size:           8
        .value_kind:     by_value
      - .offset:         216
        .size:           4
        .value_kind:     hidden_block_count_x
      - .offset:         220
        .size:           4
        .value_kind:     hidden_block_count_y
      - .offset:         224
        .size:           4
        .value_kind:     hidden_block_count_z
      - .offset:         228
        .size:           2
        .value_kind:     hidden_group_size_x
      - .offset:         230
        .size:           2
        .value_kind:     hidden_group_size_y
      - .offset:         232
        .size:           2
        .value_kind:     hidden_group_size_z
      - .offset:         234
        .size:           2
        .value_kind:     hidden_remainder_x
      - .offset:         236
        .size:           2
        .value_kind:     hidden_remainder_y
      - .offset:         238
        .size:           2
        .value_kind:     hidden_remainder_z
      - .offset:         256
        .size:           8
        .value_kind:     hidden_global_offset_x
      - .offset:         264
        .size:           8
        .value_kind:     hidden_global_offset_y
      - .offset:         272
        .size:           8
        .value_kind:     hidden_global_offset_z
      - .offset:         280
        .size:           2
        .value_kind:     hidden_grid_dims
    .group_segment_fixed_size: 0
    .kernarg_segment_align: 8
    .kernarg_segment_size: 472
    .language:       OpenCL C
    .language_version:
      - 2
      - 0
    .max_flat_workgroup_size: 256
    .name:           _ZL19concat_f32_non_contILi2EEvPKcS1_Pcllllmmmmllllmmmmllllmmmm
    .private_segment_fixed_size: 0
    .sgpr_count:     58
    .sgpr_spill_count: 0
    .symbol:         _ZL19concat_f32_non_contILi2EEvPKcS1_Pcllllmmmmllllmmmmllllmmmm.kd
    .uniform_work_group_size: 1
    .uses_dynamic_stack: false
    .vgpr_count:     17
    .vgpr_spill_count: 0
    .wavefront_size: 64
  - .args:
      - .address_space:  global
        .offset:         0
        .size:           8
        .value_kind:     global_buffer
      - .address_space:  global
        .offset:         8
        .size:           8
        .value_kind:     global_buffer
      - .address_space:  global
        .offset:         16
        .size:           8
        .value_kind:     global_buffer
      - .offset:         24
        .size:           8
        .value_kind:     by_value
      - .offset:         32
        .size:           8
        .value_kind:     by_value
      - .offset:         40
        .size:           8
        .value_kind:     by_value
      - .offset:         48
        .size:           8
        .value_kind:     by_value
      - .offset:         56
        .size:           8
        .value_kind:     by_value
      - .offset:         64
        .size:           8
        .value_kind:     by_value
      - .offset:         72
        .size:           8
        .value_kind:     by_value
      - .offset:         80
        .size:           8
        .value_kind:     by_value
      - .offset:         88
        .size:           8
        .value_kind:     by_value
      - .offset:         96
        .size:           8
        .value_kind:     by_value
      - .offset:         104
        .size:           8
        .value_kind:     by_value
      - .offset:         112
        .size:           8
        .value_kind:     by_value
      - .offset:         120
        .size:           8
        .value_kind:     by_value
      - .offset:         128
        .size:           8
        .value_kind:     by_value
      - .offset:         136
        .size:           8
        .value_kind:     by_value
      - .offset:         144
        .size:           8
        .value_kind:     by_value
      - .offset:         152
        .size:           8
        .value_kind:     by_value
      - .offset:         160
        .size:           8
        .value_kind:     by_value
      - .offset:         168
        .size:           8
        .value_kind:     by_value
      - .offset:         176
        .size:           8
        .value_kind:     by_value
      - .offset:         184
        .size:           8
        .value_kind:     by_value
      - .offset:         192
        .size:           8
        .value_kind:     by_value
      - .offset:         200
        .size:           8
        .value_kind:     by_value
      - .offset:         208
        .size:           8
        .value_kind:     by_value
      - .offset:         216
        .size:           4
        .value_kind:     hidden_block_count_x
      - .offset:         220
        .size:           4
        .value_kind:     hidden_block_count_y
      - .offset:         224
        .size:           4
        .value_kind:     hidden_block_count_z
      - .offset:         228
        .size:           2
        .value_kind:     hidden_group_size_x
      - .offset:         230
        .size:           2
        .value_kind:     hidden_group_size_y
      - .offset:         232
        .size:           2
        .value_kind:     hidden_group_size_z
      - .offset:         234
        .size:           2
        .value_kind:     hidden_remainder_x
      - .offset:         236
        .size:           2
        .value_kind:     hidden_remainder_y
      - .offset:         238
        .size:           2
        .value_kind:     hidden_remainder_z
      - .offset:         256
        .size:           8
        .value_kind:     hidden_global_offset_x
      - .offset:         264
        .size:           8
        .value_kind:     hidden_global_offset_y
      - .offset:         272
        .size:           8
        .value_kind:     hidden_global_offset_z
      - .offset:         280
        .size:           2
        .value_kind:     hidden_grid_dims
    .group_segment_fixed_size: 0
    .kernarg_segment_align: 8
    .kernarg_segment_size: 472
    .language:       OpenCL C
    .language_version:
      - 2
      - 0
    .max_flat_workgroup_size: 256
    .name:           _ZL19concat_f32_non_contILi3EEvPKcS1_Pcllllmmmmllllmmmmllllmmmm
    .private_segment_fixed_size: 0
    .sgpr_count:     56
    .sgpr_spill_count: 0
    .symbol:         _ZL19concat_f32_non_contILi3EEvPKcS1_Pcllllmmmmllllmmmmllllmmmm.kd
    .uniform_work_group_size: 1
    .uses_dynamic_stack: false
    .vgpr_count:     17
    .vgpr_spill_count: 0
    .wavefront_size: 64
amdhsa.target:   amdgcn-amd-amdhsa--gfx906
amdhsa.version:
  - 1
  - 2
...

	.end_amdgpu_metadata
